;; amdgpu-corpus repo=ROCm/rocSPARSE kind=compiled arch=gfx906 opt=O3
	.amdgcn_target "amdgcn-amd-amdhsa--gfx906"
	.amdhsa_code_object_version 6
	.section	.text._ZN9rocsparseL39bsrgeam_wf_per_row_multipass_2_3_kernelILj256ELj2ELj32EfEEv20rocsparse_direction_iiiNS_24const_host_device_scalarIT2_EEPKiS6_PKS3_S4_S6_S6_S8_S6_PiPS3_21rocsparse_index_base_SB_SB_b,"axG",@progbits,_ZN9rocsparseL39bsrgeam_wf_per_row_multipass_2_3_kernelILj256ELj2ELj32EfEEv20rocsparse_direction_iiiNS_24const_host_device_scalarIT2_EEPKiS6_PKS3_S4_S6_S6_S8_S6_PiPS3_21rocsparse_index_base_SB_SB_b,comdat
	.globl	_ZN9rocsparseL39bsrgeam_wf_per_row_multipass_2_3_kernelILj256ELj2ELj32EfEEv20rocsparse_direction_iiiNS_24const_host_device_scalarIT2_EEPKiS6_PKS3_S4_S6_S6_S8_S6_PiPS3_21rocsparse_index_base_SB_SB_b ; -- Begin function _ZN9rocsparseL39bsrgeam_wf_per_row_multipass_2_3_kernelILj256ELj2ELj32EfEEv20rocsparse_direction_iiiNS_24const_host_device_scalarIT2_EEPKiS6_PKS3_S4_S6_S6_S8_S6_PiPS3_21rocsparse_index_base_SB_SB_b
	.p2align	8
	.type	_ZN9rocsparseL39bsrgeam_wf_per_row_multipass_2_3_kernelILj256ELj2ELj32EfEEv20rocsparse_direction_iiiNS_24const_host_device_scalarIT2_EEPKiS6_PKS3_S4_S6_S6_S8_S6_PiPS3_21rocsparse_index_base_SB_SB_b,@function
_ZN9rocsparseL39bsrgeam_wf_per_row_multipass_2_3_kernelILj256ELj2ELj32EfEEv20rocsparse_direction_iiiNS_24const_host_device_scalarIT2_EEPKiS6_PKS3_S4_S6_S6_S8_S6_PiPS3_21rocsparse_index_base_SB_SB_b: ; @_ZN9rocsparseL39bsrgeam_wf_per_row_multipass_2_3_kernelILj256ELj2ELj32EfEEv20rocsparse_direction_iiiNS_24const_host_device_scalarIT2_EEPKiS6_PKS3_S4_S6_S6_S8_S6_PiPS3_21rocsparse_index_base_SB_SB_b
; %bb.0:
	s_load_dwordx4 s[8:11], s[4:5], 0x68
	s_load_dwordx2 s[28:29], s[4:5], 0x10
	s_load_dwordx2 s[30:31], s[4:5], 0x30
	s_waitcnt lgkmcnt(0)
	s_bitcmp1_b32 s11, 0
	s_cselect_b64 s[2:3], -1, 0
	s_xor_b64 s[0:1], s[2:3], -1
	s_and_b64 vcc, exec, s[2:3]
	s_cbranch_vccnz .LBB0_2
; %bb.1:
	s_load_dword s28, s[28:29], 0x0
.LBB0_2:
	s_andn2_b64 vcc, exec, s[0:1]
	s_cbranch_vccnz .LBB0_4
; %bb.3:
	s_load_dword s30, s[30:31], 0x0
.LBB0_4:
	s_nop 0
	s_load_dwordx4 s[12:15], s[4:5], 0x0
	s_lshl_b32 s0, s6, 3
	v_lshrrev_b32_e32 v8, 5, v0
	s_and_b32 s0, s0, 0x7fffff8
	v_or_b32_e32 v1, s0, v8
	s_waitcnt lgkmcnt(0)
	v_cmp_gt_i32_e32 vcc, s13, v1
	s_and_saveexec_b64 s[0:1], vcc
	s_cbranch_execz .LBB0_39
; %bb.5:
	s_load_dwordx4 s[16:19], s[4:5], 0x18
	s_load_dwordx4 s[20:23], s[4:5], 0x38
	s_load_dwordx2 s[0:1], s[4:5], 0x50
	v_lshlrev_b32_e32 v5, 2, v1
	s_waitcnt lgkmcnt(0)
	global_load_dwordx2 v[1:2], v5, s[16:17]
	global_load_dwordx2 v[3:4], v5, s[20:21]
	global_load_dword v9, v5, s[0:1]
	s_waitcnt vmcnt(2)
	v_subrev_u32_e32 v5, s8, v1
	v_cmp_lt_i32_e32 vcc, v1, v2
	v_mov_b32_e32 v1, s14
	s_and_saveexec_b64 s[0:1], vcc
	s_cbranch_execz .LBB0_7
; %bb.6:
	v_ashrrev_i32_e32 v6, 31, v5
	v_lshlrev_b64 v[6:7], 2, v[5:6]
	v_mov_b32_e32 v1, s19
	v_add_co_u32_e32 v6, vcc, s18, v6
	v_addc_co_u32_e32 v7, vcc, v1, v7, vcc
	global_load_dword v1, v[6:7], off
	s_waitcnt vmcnt(0)
	v_subrev_u32_e32 v1, s8, v1
.LBB0_7:
	s_or_b64 exec, exec, s[0:1]
	s_load_dwordx4 s[24:27], s[4:5], 0x58
	s_load_dwordx2 s[6:7], s[4:5], 0x28
	s_load_dwordx2 s[16:17], s[4:5], 0x48
	s_waitcnt vmcnt(1)
	v_subrev_u32_e32 v6, s9, v3
	v_cmp_lt_i32_e32 vcc, v3, v4
	v_mov_b32_e32 v3, s14
	s_and_saveexec_b64 s[0:1], vcc
	s_cbranch_execz .LBB0_9
; %bb.8:
	v_ashrrev_i32_e32 v7, 31, v6
	v_lshlrev_b64 v[10:11], 2, v[6:7]
	v_mov_b32_e32 v3, s23
	v_add_co_u32_e32 v10, vcc, s22, v10
	v_addc_co_u32_e32 v11, vcc, v3, v11, vcc
	global_load_dword v3, v[10:11], off
	s_waitcnt vmcnt(0)
	v_subrev_u32_e32 v3, s9, v3
.LBB0_9:
	s_or_b64 exec, exec, s[0:1]
	v_min_i32_e32 v27, v3, v1
	v_mbcnt_lo_u32_b32 v1, -1, 0
	v_and_b32_e32 v7, 0xe0, v0
	v_and_b32_e32 v0, 31, v0
	v_mbcnt_hi_u32_b32 v1, -1, v1
	v_subrev_u32_e32 v16, s8, v2
	v_and_b32_e32 v2, 64, v1
	v_xor_b32_e32 v3, 31, v0
	v_add_u32_e32 v2, 64, v2
	v_lshrrev_b32_e64 v20, v3, -1
	v_xor_b32_e32 v3, 16, v1
	v_subrev_u32_e32 v17, s9, v4
	v_add_u32_e32 v4, v5, v0
	v_xor_b32_e32 v5, 8, v1
	v_cmp_lt_i32_e32 vcc, v3, v2
	v_or_b32_e32 v14, 0x1000, v7
	v_xor_b32_e32 v7, 4, v1
	v_cndmask_b32_e32 v3, v1, v3, vcc
	v_cmp_lt_i32_e32 vcc, v5, v2
	v_lshlrev_b32_e32 v15, 9, v8
	v_xor_b32_e32 v8, 2, v1
	v_lshlrev_b32_e32 v22, 2, v3
	v_cndmask_b32_e32 v3, v1, v5, vcc
	v_cmp_lt_i32_e32 vcc, v7, v2
	s_waitcnt vmcnt(0)
	v_subrev_u32_e32 v18, s10, v9
	s_cmp_lg_u32 s12, 0
	v_xor_b32_e32 v9, 1, v1
	v_lshlrev_b32_e32 v23, 2, v3
	v_cndmask_b32_e32 v3, v1, v7, vcc
	v_cmp_lt_i32_e32 vcc, v8, v2
	s_cselect_b64 s[0:1], -1, 0
	v_lshlrev_b32_e32 v24, 2, v3
	v_cndmask_b32_e32 v3, v1, v8, vcc
	v_cmp_lt_i32_e32 vcc, v9, v2
	v_add_u32_e32 v6, v6, v0
	v_lshl_or_b32 v19, v0, 4, v15
	s_cmp_eq_u32 s12, 0
	v_add_u32_e32 v21, s10, v0
	v_cndmask_b32_e32 v1, v1, v9, vcc
	v_add_u32_e32 v28, v14, v0
	v_cndmask_b32_e64 v0, 0, 1, s[0:1]
	v_mov_b32_e32 v9, 0
	v_lshlrev_b32_e32 v25, 2, v3
	v_lshlrev_b32_e32 v26, 2, v1
	s_cselect_b32 s15, 4, 8
	s_cselect_b32 s29, 8, 4
	s_mov_b64 s[4:5], 0
	v_cmp_ne_u32_e64 s[0:1], 1, v0
	v_mov_b32_e32 v0, v9
	v_mov_b32_e32 v1, v9
	v_mov_b32_e32 v2, v9
	v_mov_b32_e32 v3, v9
	v_mov_b32_e32 v29, 1
	s_branch .LBB0_11
.LBB0_10:                               ;   in Loop: Header=BB0_11 Depth=1
	s_or_b64 exec, exec, s[10:11]
	ds_bpermute_b32 v5, v22, v30
	s_bcnt1_i32_b64 s2, vcc
	v_add_u32_e32 v18, s2, v18
	s_waitcnt lgkmcnt(0)
	v_min_i32_e32 v5, v5, v30
	ds_bpermute_b32 v7, v23, v5
	s_waitcnt lgkmcnt(0)
	v_min_i32_e32 v5, v7, v5
	ds_bpermute_b32 v7, v24, v5
	;; [unrolled: 3-line block ×4, first 2 shown]
	s_waitcnt lgkmcnt(0)
	v_min_i32_e32 v27, v7, v5
	v_cmp_le_i32_e32 vcc, s14, v27
	s_or_b64 s[4:5], vcc, s[4:5]
	s_andn2_b64 exec, exec, s[4:5]
	s_cbranch_execz .LBB0_39
.LBB0_11:                               ; =>This Loop Header: Depth=1
                                        ;     Child Loop BB0_14 Depth 2
                                        ;     Child Loop BB0_27 Depth 2
	v_cmp_lt_i32_e32 vcc, v4, v16
	v_mov_b32_e32 v30, s14
	ds_write_b8 v28, v9
	ds_write_b128 v19, v[0:3]
	s_waitcnt lgkmcnt(0)
	s_and_saveexec_b64 s[10:11], vcc
	s_cbranch_execz .LBB0_24
; %bb.12:                               ;   in Loop: Header=BB0_11 Depth=1
	v_lshlrev_b32_e32 v8, 2, v4
	s_mov_b64 s[12:13], 0
	v_mov_b32_e32 v30, s14
	s_branch .LBB0_14
.LBB0_13:                               ;   in Loop: Header=BB0_14 Depth=2
	s_or_b64 exec, exec, s[34:35]
	s_and_b64 s[2:3], exec, s[20:21]
	s_or_b64 s[12:13], s[2:3], s[12:13]
	s_andn2_b64 exec, exec, s[12:13]
	s_cbranch_execz .LBB0_23
.LBB0_14:                               ;   Parent Loop BB0_11 Depth=1
                                        ; =>  This Inner Loop Header: Depth=2
	v_ashrrev_i32_e32 v5, 31, v4
	v_lshlrev_b64 v[10:11], 2, v[4:5]
	v_mov_b32_e32 v5, s19
	v_add_co_u32_e32 v10, vcc, s18, v10
	v_addc_co_u32_e32 v11, vcc, v5, v11, vcc
	global_load_dword v5, v[10:11], off
	s_waitcnt vmcnt(0)
	v_subrev_u32_e32 v7, s8, v5
	v_sub_u32_e32 v5, v7, v27
	v_cmp_gt_u32_e64 s[2:3], 32, v5
	v_cmp_lt_u32_e32 vcc, 31, v5
	s_and_saveexec_b64 s[20:21], vcc
	s_xor_b64 s[20:21], exec, s[20:21]
; %bb.15:                               ;   in Loop: Header=BB0_14 Depth=2
	v_min_i32_e32 v30, v7, v30
                                        ; implicit-def: $vgpr5
; %bb.16:                               ;   in Loop: Header=BB0_14 Depth=2
	s_andn2_saveexec_b64 s[20:21], s[20:21]
	s_cbranch_execz .LBB0_21
; %bb.17:                               ;   in Loop: Header=BB0_14 Depth=2
	v_lshlrev_b64 v[10:11], 2, v[8:9]
	v_mov_b32_e32 v7, s7
	v_add_co_u32_e32 v10, vcc, s6, v10
	v_addc_co_u32_e32 v11, vcc, v7, v11, vcc
	global_load_dword v7, v[10:11], off
	v_add_u32_e32 v12, v14, v5
	v_lshlrev_b32_e32 v5, 4, v5
	s_and_b64 vcc, exec, s[0:1]
	v_add_u32_e32 v5, v15, v5
	s_mov_b64 s[34:35], -1
	ds_write_b8 v12, v29
	s_waitcnt vmcnt(0)
	v_mul_f32_e32 v7, s28, v7
	ds_write_b32 v5, v7
	s_cbranch_vccnz .LBB0_19
; %bb.18:                               ;   in Loop: Header=BB0_14 Depth=2
	global_load_dwordx3 v[31:33], v[10:11], off offset:4
	s_mov_b64 s[34:35], 0
	s_waitcnt vmcnt(0)
	v_mul_f32_e32 v7, s28, v32
	v_mul_f32_e32 v12, s28, v31
	;; [unrolled: 1-line block ×3, first 2 shown]
	ds_write2_b32 v5, v7, v12 offset0:1 offset1:2
	ds_write_b32 v5, v13 offset:12
.LBB0_19:                               ;   in Loop: Header=BB0_14 Depth=2
	s_andn2_b64 vcc, exec, s[34:35]
	s_cbranch_vccnz .LBB0_21
; %bb.20:                               ;   in Loop: Header=BB0_14 Depth=2
	global_load_dwordx3 v[10:12], v[10:11], off offset:4
	s_waitcnt vmcnt(0)
	v_mul_f32_e32 v7, s28, v10
	v_mul_f32_e32 v10, s28, v11
	;; [unrolled: 1-line block ×3, first 2 shown]
	ds_write2_b32 v5, v7, v10 offset0:1 offset1:2
	ds_write_b32 v5, v11 offset:12
.LBB0_21:                               ;   in Loop: Header=BB0_14 Depth=2
	s_or_b64 exec, exec, s[20:21]
	s_mov_b64 s[20:21], -1
	s_and_saveexec_b64 s[34:35], s[2:3]
	s_cbranch_execz .LBB0_13
; %bb.22:                               ;   in Loop: Header=BB0_14 Depth=2
	v_add_u32_e32 v4, 32, v4
	v_cmp_ge_i32_e32 vcc, v4, v16
	v_add_u32_e32 v8, 0x80, v8
	s_orn2_b64 s[20:21], vcc, exec
	s_branch .LBB0_13
.LBB0_23:                               ;   in Loop: Header=BB0_11 Depth=1
	s_or_b64 exec, exec, s[12:13]
.LBB0_24:                               ;   in Loop: Header=BB0_11 Depth=1
	s_or_b64 exec, exec, s[10:11]
	v_cmp_lt_i32_e32 vcc, v6, v17
	s_waitcnt lgkmcnt(0)
	s_and_saveexec_b64 s[10:11], vcc
	s_cbranch_execz .LBB0_37
; %bb.25:                               ;   in Loop: Header=BB0_11 Depth=1
	v_lshlrev_b32_e32 v8, 2, v6
	s_mov_b64 s[12:13], 0
	s_branch .LBB0_27
.LBB0_26:                               ;   in Loop: Header=BB0_27 Depth=2
	s_or_b64 exec, exec, s[34:35]
	s_and_b64 s[2:3], exec, s[20:21]
	s_or_b64 s[12:13], s[2:3], s[12:13]
	s_andn2_b64 exec, exec, s[12:13]
	s_cbranch_execz .LBB0_36
.LBB0_27:                               ;   Parent Loop BB0_11 Depth=1
                                        ; =>  This Inner Loop Header: Depth=2
	v_ashrrev_i32_e32 v7, 31, v6
	v_lshlrev_b64 v[10:11], 2, v[6:7]
	v_mov_b32_e32 v5, s23
	v_add_co_u32_e32 v10, vcc, s22, v10
	v_addc_co_u32_e32 v11, vcc, v5, v11, vcc
	global_load_dword v5, v[10:11], off
	s_waitcnt vmcnt(0)
	v_subrev_u32_e32 v5, s9, v5
	v_sub_u32_e32 v7, v5, v27
	v_cmp_gt_u32_e64 s[2:3], 32, v7
	v_cmp_lt_u32_e32 vcc, 31, v7
	s_and_saveexec_b64 s[20:21], vcc
	s_xor_b64 s[20:21], exec, s[20:21]
; %bb.28:                               ;   in Loop: Header=BB0_27 Depth=2
	v_min_i32_e32 v30, v5, v30
                                        ; implicit-def: $vgpr7
; %bb.29:                               ;   in Loop: Header=BB0_27 Depth=2
	s_andn2_saveexec_b64 s[20:21], s[20:21]
	s_cbranch_execz .LBB0_34
; %bb.30:                               ;   in Loop: Header=BB0_27 Depth=2
	v_lshlrev_b64 v[10:11], 2, v[8:9]
	v_mov_b32_e32 v5, s17
	v_add_co_u32_e32 v12, vcc, s16, v10
	v_addc_co_u32_e32 v13, vcc, v5, v11, vcc
	global_load_dword v31, v[12:13], off
	v_lshlrev_b32_e32 v5, 4, v7
	v_add_u32_e32 v5, v15, v5
	ds_read_b64 v[10:11], v5
	v_add_u32_e32 v7, v14, v7
	s_and_b64 vcc, exec, s[0:1]
	ds_write_b8 v7, v29
	s_mov_b64 s[34:35], -1
	s_waitcnt vmcnt(0) lgkmcnt(1)
	v_fma_f32 v7, s30, v31, v10
	ds_write_b32 v5, v7
	s_cbranch_vccnz .LBB0_32
; %bb.31:                               ;   in Loop: Header=BB0_27 Depth=2
	global_load_dwordx3 v[31:33], v[12:13], off offset:4
	ds_read_b64 v[34:35], v5 offset:8
	s_mov_b64 s[34:35], 0
	s_waitcnt vmcnt(0)
	v_fma_f32 v7, s30, v32, v11
	s_waitcnt lgkmcnt(0)
	v_fma_f32 v10, s30, v31, v34
	v_fmac_f32_e32 v35, s30, v33
	ds_write2_b32 v5, v7, v10 offset0:1 offset1:2
	ds_write_b32 v5, v35 offset:12
.LBB0_32:                               ;   in Loop: Header=BB0_27 Depth=2
	s_andn2_b64 vcc, exec, s[34:35]
	s_cbranch_vccnz .LBB0_34
; %bb.33:                               ;   in Loop: Header=BB0_27 Depth=2
	global_load_dwordx3 v[31:33], v[12:13], off offset:4
	ds_read_b64 v[12:13], v5 offset:8
	s_waitcnt vmcnt(0)
	v_fmac_f32_e32 v11, s30, v31
	s_waitcnt lgkmcnt(0)
	v_fma_f32 v7, s30, v32, v12
	v_fmac_f32_e32 v13, s30, v33
	ds_write2_b32 v5, v11, v7 offset0:1 offset1:2
	ds_write_b32 v5, v13 offset:12
.LBB0_34:                               ;   in Loop: Header=BB0_27 Depth=2
	s_or_b64 exec, exec, s[20:21]
	s_mov_b64 s[20:21], -1
	s_and_saveexec_b64 s[34:35], s[2:3]
	s_cbranch_execz .LBB0_26
; %bb.35:                               ;   in Loop: Header=BB0_27 Depth=2
	v_add_u32_e32 v6, 32, v6
	v_cmp_ge_i32_e32 vcc, v6, v17
	v_add_u32_e32 v8, 0x80, v8
	s_orn2_b64 s[20:21], vcc, exec
	s_branch .LBB0_26
.LBB0_36:                               ;   in Loop: Header=BB0_11 Depth=1
	s_or_b64 exec, exec, s[12:13]
.LBB0_37:                               ;   in Loop: Header=BB0_11 Depth=1
	s_or_b64 exec, exec, s[10:11]
	s_waitcnt lgkmcnt(0)
	ds_read_u8 v5, v28
	s_waitcnt lgkmcnt(0)
	v_and_b32_e32 v7, 1, v5
	v_cmp_eq_u32_e64 s[2:3], 1, v7
	v_cmp_ne_u16_e32 vcc, 0, v5
	s_and_saveexec_b64 s[10:11], s[2:3]
	s_cbranch_execz .LBB0_10
; %bb.38:                               ;   in Loop: Header=BB0_11 Depth=1
	v_and_b32_e32 v5, vcc_lo, v20
	v_bcnt_u32_b32 v5, v5, 0
	v_add3_u32 v7, v18, v5, -1
	v_ashrrev_i32_e32 v8, 31, v7
	v_lshlrev_b64 v[10:11], 2, v[7:8]
	v_mov_b32_e32 v5, s25
	v_add_co_u32_e64 v10, s[2:3], s24, v10
	v_add_u32_e32 v12, v21, v27
	v_addc_co_u32_e64 v11, s[2:3], v5, v11, s[2:3]
	global_store_dword v[10:11], v12, off
	v_add_u32_e32 v10, s15, v19
	v_add_u32_e32 v12, s29, v19
	ds_read_b32 v11, v10
	ds_read_b32 v12, v12
	ds_read2_b32 v[31:32], v19 offset1:3
	v_lshlrev_b32_e32 v8, 2, v7
	v_lshlrev_b64 v[7:8], 2, v[8:9]
	v_mov_b32_e32 v5, s27
	v_add_co_u32_e64 v7, s[2:3], s26, v7
	v_addc_co_u32_e64 v8, s[2:3], v5, v8, s[2:3]
	s_waitcnt lgkmcnt(0)
	v_mov_b32_e32 v10, v31
	v_mov_b32_e32 v13, v32
	global_store_dwordx4 v[7:8], v[10:13], off
	s_branch .LBB0_10
.LBB0_39:
	s_endpgm
	.section	.rodata,"a",@progbits
	.p2align	6, 0x0
	.amdhsa_kernel _ZN9rocsparseL39bsrgeam_wf_per_row_multipass_2_3_kernelILj256ELj2ELj32EfEEv20rocsparse_direction_iiiNS_24const_host_device_scalarIT2_EEPKiS6_PKS3_S4_S6_S6_S8_S6_PiPS3_21rocsparse_index_base_SB_SB_b
		.amdhsa_group_segment_fixed_size 4352
		.amdhsa_private_segment_fixed_size 0
		.amdhsa_kernarg_size 120
		.amdhsa_user_sgpr_count 6
		.amdhsa_user_sgpr_private_segment_buffer 1
		.amdhsa_user_sgpr_dispatch_ptr 0
		.amdhsa_user_sgpr_queue_ptr 0
		.amdhsa_user_sgpr_kernarg_segment_ptr 1
		.amdhsa_user_sgpr_dispatch_id 0
		.amdhsa_user_sgpr_flat_scratch_init 0
		.amdhsa_user_sgpr_private_segment_size 0
		.amdhsa_uses_dynamic_stack 0
		.amdhsa_system_sgpr_private_segment_wavefront_offset 0
		.amdhsa_system_sgpr_workgroup_id_x 1
		.amdhsa_system_sgpr_workgroup_id_y 0
		.amdhsa_system_sgpr_workgroup_id_z 0
		.amdhsa_system_sgpr_workgroup_info 0
		.amdhsa_system_vgpr_workitem_id 0
		.amdhsa_next_free_vgpr 36
		.amdhsa_next_free_sgpr 36
		.amdhsa_reserve_vcc 1
		.amdhsa_reserve_flat_scratch 0
		.amdhsa_float_round_mode_32 0
		.amdhsa_float_round_mode_16_64 0
		.amdhsa_float_denorm_mode_32 3
		.amdhsa_float_denorm_mode_16_64 3
		.amdhsa_dx10_clamp 1
		.amdhsa_ieee_mode 1
		.amdhsa_fp16_overflow 0
		.amdhsa_exception_fp_ieee_invalid_op 0
		.amdhsa_exception_fp_denorm_src 0
		.amdhsa_exception_fp_ieee_div_zero 0
		.amdhsa_exception_fp_ieee_overflow 0
		.amdhsa_exception_fp_ieee_underflow 0
		.amdhsa_exception_fp_ieee_inexact 0
		.amdhsa_exception_int_div_zero 0
	.end_amdhsa_kernel
	.section	.text._ZN9rocsparseL39bsrgeam_wf_per_row_multipass_2_3_kernelILj256ELj2ELj32EfEEv20rocsparse_direction_iiiNS_24const_host_device_scalarIT2_EEPKiS6_PKS3_S4_S6_S6_S8_S6_PiPS3_21rocsparse_index_base_SB_SB_b,"axG",@progbits,_ZN9rocsparseL39bsrgeam_wf_per_row_multipass_2_3_kernelILj256ELj2ELj32EfEEv20rocsparse_direction_iiiNS_24const_host_device_scalarIT2_EEPKiS6_PKS3_S4_S6_S6_S8_S6_PiPS3_21rocsparse_index_base_SB_SB_b,comdat
.Lfunc_end0:
	.size	_ZN9rocsparseL39bsrgeam_wf_per_row_multipass_2_3_kernelILj256ELj2ELj32EfEEv20rocsparse_direction_iiiNS_24const_host_device_scalarIT2_EEPKiS6_PKS3_S4_S6_S6_S8_S6_PiPS3_21rocsparse_index_base_SB_SB_b, .Lfunc_end0-_ZN9rocsparseL39bsrgeam_wf_per_row_multipass_2_3_kernelILj256ELj2ELj32EfEEv20rocsparse_direction_iiiNS_24const_host_device_scalarIT2_EEPKiS6_PKS3_S4_S6_S6_S8_S6_PiPS3_21rocsparse_index_base_SB_SB_b
                                        ; -- End function
	.set _ZN9rocsparseL39bsrgeam_wf_per_row_multipass_2_3_kernelILj256ELj2ELj32EfEEv20rocsparse_direction_iiiNS_24const_host_device_scalarIT2_EEPKiS6_PKS3_S4_S6_S6_S8_S6_PiPS3_21rocsparse_index_base_SB_SB_b.num_vgpr, 36
	.set _ZN9rocsparseL39bsrgeam_wf_per_row_multipass_2_3_kernelILj256ELj2ELj32EfEEv20rocsparse_direction_iiiNS_24const_host_device_scalarIT2_EEPKiS6_PKS3_S4_S6_S6_S8_S6_PiPS3_21rocsparse_index_base_SB_SB_b.num_agpr, 0
	.set _ZN9rocsparseL39bsrgeam_wf_per_row_multipass_2_3_kernelILj256ELj2ELj32EfEEv20rocsparse_direction_iiiNS_24const_host_device_scalarIT2_EEPKiS6_PKS3_S4_S6_S6_S8_S6_PiPS3_21rocsparse_index_base_SB_SB_b.numbered_sgpr, 36
	.set _ZN9rocsparseL39bsrgeam_wf_per_row_multipass_2_3_kernelILj256ELj2ELj32EfEEv20rocsparse_direction_iiiNS_24const_host_device_scalarIT2_EEPKiS6_PKS3_S4_S6_S6_S8_S6_PiPS3_21rocsparse_index_base_SB_SB_b.num_named_barrier, 0
	.set _ZN9rocsparseL39bsrgeam_wf_per_row_multipass_2_3_kernelILj256ELj2ELj32EfEEv20rocsparse_direction_iiiNS_24const_host_device_scalarIT2_EEPKiS6_PKS3_S4_S6_S6_S8_S6_PiPS3_21rocsparse_index_base_SB_SB_b.private_seg_size, 0
	.set _ZN9rocsparseL39bsrgeam_wf_per_row_multipass_2_3_kernelILj256ELj2ELj32EfEEv20rocsparse_direction_iiiNS_24const_host_device_scalarIT2_EEPKiS6_PKS3_S4_S6_S6_S8_S6_PiPS3_21rocsparse_index_base_SB_SB_b.uses_vcc, 1
	.set _ZN9rocsparseL39bsrgeam_wf_per_row_multipass_2_3_kernelILj256ELj2ELj32EfEEv20rocsparse_direction_iiiNS_24const_host_device_scalarIT2_EEPKiS6_PKS3_S4_S6_S6_S8_S6_PiPS3_21rocsparse_index_base_SB_SB_b.uses_flat_scratch, 0
	.set _ZN9rocsparseL39bsrgeam_wf_per_row_multipass_2_3_kernelILj256ELj2ELj32EfEEv20rocsparse_direction_iiiNS_24const_host_device_scalarIT2_EEPKiS6_PKS3_S4_S6_S6_S8_S6_PiPS3_21rocsparse_index_base_SB_SB_b.has_dyn_sized_stack, 0
	.set _ZN9rocsparseL39bsrgeam_wf_per_row_multipass_2_3_kernelILj256ELj2ELj32EfEEv20rocsparse_direction_iiiNS_24const_host_device_scalarIT2_EEPKiS6_PKS3_S4_S6_S6_S8_S6_PiPS3_21rocsparse_index_base_SB_SB_b.has_recursion, 0
	.set _ZN9rocsparseL39bsrgeam_wf_per_row_multipass_2_3_kernelILj256ELj2ELj32EfEEv20rocsparse_direction_iiiNS_24const_host_device_scalarIT2_EEPKiS6_PKS3_S4_S6_S6_S8_S6_PiPS3_21rocsparse_index_base_SB_SB_b.has_indirect_call, 0
	.section	.AMDGPU.csdata,"",@progbits
; Kernel info:
; codeLenInByte = 1644
; TotalNumSgprs: 40
; NumVgprs: 36
; ScratchSize: 0
; MemoryBound: 0
; FloatMode: 240
; IeeeMode: 1
; LDSByteSize: 4352 bytes/workgroup (compile time only)
; SGPRBlocks: 4
; VGPRBlocks: 8
; NumSGPRsForWavesPerEU: 40
; NumVGPRsForWavesPerEU: 36
; Occupancy: 7
; WaveLimiterHint : 1
; COMPUTE_PGM_RSRC2:SCRATCH_EN: 0
; COMPUTE_PGM_RSRC2:USER_SGPR: 6
; COMPUTE_PGM_RSRC2:TRAP_HANDLER: 0
; COMPUTE_PGM_RSRC2:TGID_X_EN: 1
; COMPUTE_PGM_RSRC2:TGID_Y_EN: 0
; COMPUTE_PGM_RSRC2:TGID_Z_EN: 0
; COMPUTE_PGM_RSRC2:TIDIG_COMP_CNT: 0
	.section	.text._ZN9rocsparseL39bsrgeam_wf_per_row_multipass_2_3_kernelILj256ELj2ELj64EfEEv20rocsparse_direction_iiiNS_24const_host_device_scalarIT2_EEPKiS6_PKS3_S4_S6_S6_S8_S6_PiPS3_21rocsparse_index_base_SB_SB_b,"axG",@progbits,_ZN9rocsparseL39bsrgeam_wf_per_row_multipass_2_3_kernelILj256ELj2ELj64EfEEv20rocsparse_direction_iiiNS_24const_host_device_scalarIT2_EEPKiS6_PKS3_S4_S6_S6_S8_S6_PiPS3_21rocsparse_index_base_SB_SB_b,comdat
	.globl	_ZN9rocsparseL39bsrgeam_wf_per_row_multipass_2_3_kernelILj256ELj2ELj64EfEEv20rocsparse_direction_iiiNS_24const_host_device_scalarIT2_EEPKiS6_PKS3_S4_S6_S6_S8_S6_PiPS3_21rocsparse_index_base_SB_SB_b ; -- Begin function _ZN9rocsparseL39bsrgeam_wf_per_row_multipass_2_3_kernelILj256ELj2ELj64EfEEv20rocsparse_direction_iiiNS_24const_host_device_scalarIT2_EEPKiS6_PKS3_S4_S6_S6_S8_S6_PiPS3_21rocsparse_index_base_SB_SB_b
	.p2align	8
	.type	_ZN9rocsparseL39bsrgeam_wf_per_row_multipass_2_3_kernelILj256ELj2ELj64EfEEv20rocsparse_direction_iiiNS_24const_host_device_scalarIT2_EEPKiS6_PKS3_S4_S6_S6_S8_S6_PiPS3_21rocsparse_index_base_SB_SB_b,@function
_ZN9rocsparseL39bsrgeam_wf_per_row_multipass_2_3_kernelILj256ELj2ELj64EfEEv20rocsparse_direction_iiiNS_24const_host_device_scalarIT2_EEPKiS6_PKS3_S4_S6_S6_S8_S6_PiPS3_21rocsparse_index_base_SB_SB_b: ; @_ZN9rocsparseL39bsrgeam_wf_per_row_multipass_2_3_kernelILj256ELj2ELj64EfEEv20rocsparse_direction_iiiNS_24const_host_device_scalarIT2_EEPKiS6_PKS3_S4_S6_S6_S8_S6_PiPS3_21rocsparse_index_base_SB_SB_b
; %bb.0:
	s_load_dwordx4 s[8:11], s[4:5], 0x68
	s_load_dwordx2 s[28:29], s[4:5], 0x10
	s_load_dwordx2 s[30:31], s[4:5], 0x30
	s_waitcnt lgkmcnt(0)
	s_bitcmp1_b32 s11, 0
	s_cselect_b64 s[2:3], -1, 0
	s_xor_b64 s[0:1], s[2:3], -1
	s_and_b64 vcc, exec, s[2:3]
	s_cbranch_vccnz .LBB1_2
; %bb.1:
	s_load_dword s28, s[28:29], 0x0
.LBB1_2:
	s_andn2_b64 vcc, exec, s[0:1]
	s_cbranch_vccnz .LBB1_4
; %bb.3:
	s_load_dword s30, s[30:31], 0x0
.LBB1_4:
	s_nop 0
	s_load_dwordx4 s[12:15], s[4:5], 0x0
	s_lshl_b32 s0, s6, 2
	v_lshrrev_b32_e32 v8, 6, v0
	s_and_b32 s0, s0, 0x3fffffc
	v_or_b32_e32 v1, s0, v8
	s_waitcnt lgkmcnt(0)
	v_cmp_gt_i32_e32 vcc, s13, v1
	s_and_saveexec_b64 s[0:1], vcc
	s_cbranch_execz .LBB1_39
; %bb.5:
	s_load_dwordx4 s[16:19], s[4:5], 0x18
	s_load_dwordx4 s[20:23], s[4:5], 0x38
	s_load_dwordx2 s[0:1], s[4:5], 0x50
	v_lshlrev_b32_e32 v5, 2, v1
	s_waitcnt lgkmcnt(0)
	global_load_dwordx2 v[1:2], v5, s[16:17]
	global_load_dwordx2 v[3:4], v5, s[20:21]
	global_load_dword v9, v5, s[0:1]
	s_waitcnt vmcnt(2)
	v_subrev_u32_e32 v5, s8, v1
	v_cmp_lt_i32_e32 vcc, v1, v2
	v_mov_b32_e32 v1, s14
	s_and_saveexec_b64 s[0:1], vcc
	s_cbranch_execz .LBB1_7
; %bb.6:
	v_ashrrev_i32_e32 v6, 31, v5
	v_lshlrev_b64 v[6:7], 2, v[5:6]
	v_mov_b32_e32 v1, s19
	v_add_co_u32_e32 v6, vcc, s18, v6
	v_addc_co_u32_e32 v7, vcc, v1, v7, vcc
	global_load_dword v1, v[6:7], off
	s_waitcnt vmcnt(0)
	v_subrev_u32_e32 v1, s8, v1
.LBB1_7:
	s_or_b64 exec, exec, s[0:1]
	s_load_dwordx4 s[24:27], s[4:5], 0x58
	s_load_dwordx2 s[6:7], s[4:5], 0x28
	s_load_dwordx2 s[16:17], s[4:5], 0x48
	s_waitcnt vmcnt(1)
	v_subrev_u32_e32 v6, s9, v3
	v_cmp_lt_i32_e32 vcc, v3, v4
	v_mov_b32_e32 v3, s14
	s_and_saveexec_b64 s[0:1], vcc
	s_cbranch_execz .LBB1_9
; %bb.8:
	v_ashrrev_i32_e32 v7, 31, v6
	v_lshlrev_b64 v[10:11], 2, v[6:7]
	v_mov_b32_e32 v3, s23
	v_add_co_u32_e32 v10, vcc, s22, v10
	v_addc_co_u32_e32 v11, vcc, v3, v11, vcc
	global_load_dword v3, v[10:11], off
	s_waitcnt vmcnt(0)
	v_subrev_u32_e32 v3, s9, v3
.LBB1_9:
	s_or_b64 exec, exec, s[0:1]
	v_min_i32_e32 v22, v3, v1
	v_mbcnt_lo_u32_b32 v1, -1, 0
	v_mbcnt_hi_u32_b32 v1, -1, v1
	v_subrev_u32_e32 v18, s8, v2
	v_and_b32_e32 v2, 64, v1
	v_and_b32_e32 v7, 0xc0, v0
	;; [unrolled: 1-line block ×3, first 2 shown]
	v_add_u32_e32 v2, 64, v2
	v_xor_b32_e32 v3, 32, v1
	v_subrev_u32_e32 v19, s9, v4
	v_add_u32_e32 v4, v5, v0
	v_xor_b32_e32 v5, 16, v1
	v_cmp_lt_i32_e32 vcc, v3, v2
	v_or_b32_e32 v16, 0x1000, v7
	v_xor_b32_e32 v7, 8, v1
	v_cndmask_b32_e32 v3, v1, v3, vcc
	v_cmp_lt_i32_e32 vcc, v5, v2
	v_lshlrev_b32_e32 v17, 10, v8
	v_xor_b32_e32 v8, 4, v1
	v_cndmask_b32_e32 v5, v1, v5, vcc
	v_cmp_lt_i32_e32 vcc, v7, v2
	s_waitcnt vmcnt(0)
	v_subrev_u32_e32 v20, s10, v9
	v_xor_b32_e32 v9, 2, v1
	v_cndmask_b32_e32 v7, v1, v7, vcc
	v_cmp_lt_i32_e32 vcc, v8, v2
	s_cmp_lg_u32 s12, 0
	v_xor_b32_e32 v10, 1, v1
	v_cndmask_b32_e32 v8, v1, v8, vcc
	v_cmp_lt_i32_e32 vcc, v9, v2
	s_cselect_b64 s[0:1], -1, 0
	v_xor_b32_e32 v11, 63, v0
	v_cndmask_b32_e32 v9, v1, v9, vcc
	v_cmp_lt_i32_e32 vcc, v10, v2
	s_cmp_eq_u32 s12, 0
	v_cndmask_b32_e32 v1, v1, v10, vcc
	v_cndmask_b32_e64 v2, 0, 1, s[0:1]
	v_lshlrev_b32_e32 v28, 2, v9
	v_mov_b32_e32 v9, 0
	v_lshrrev_b64 v[10:11], v11, -1
	v_add_u32_e32 v6, v6, v0
	v_lshl_or_b32 v21, v0, 4, v17
	v_cmp_ne_u32_e64 s[0:1], 1, v2
	v_add_u32_e32 v23, s10, v0
	v_lshlrev_b32_e32 v24, 2, v3
	v_lshlrev_b32_e32 v25, 2, v5
	;; [unrolled: 1-line block ×5, first 2 shown]
	s_cselect_b32 s15, 4, 8
	s_cselect_b32 s29, 8, 4
	s_mov_b64 s[4:5], 0
	v_add_u32_e32 v30, v16, v0
	v_mov_b32_e32 v0, v9
	v_mov_b32_e32 v1, v9
	;; [unrolled: 1-line block ×5, first 2 shown]
	s_branch .LBB1_11
.LBB1_10:                               ;   in Loop: Header=BB1_11 Depth=1
	s_or_b64 exec, exec, s[10:11]
	ds_bpermute_b32 v5, v24, v32
	s_bcnt1_i32_b64 s2, vcc
	v_add_u32_e32 v20, s2, v20
	s_waitcnt lgkmcnt(0)
	v_min_i32_e32 v5, v5, v32
	ds_bpermute_b32 v7, v25, v5
	s_waitcnt lgkmcnt(0)
	v_min_i32_e32 v5, v7, v5
	ds_bpermute_b32 v7, v26, v5
	;; [unrolled: 3-line block ×5, first 2 shown]
	s_waitcnt lgkmcnt(0)
	v_min_i32_e32 v22, v7, v5
	v_cmp_le_i32_e32 vcc, s14, v22
	s_or_b64 s[4:5], vcc, s[4:5]
	s_andn2_b64 exec, exec, s[4:5]
	s_cbranch_execz .LBB1_39
.LBB1_11:                               ; =>This Loop Header: Depth=1
                                        ;     Child Loop BB1_14 Depth 2
                                        ;     Child Loop BB1_27 Depth 2
	v_cmp_lt_i32_e32 vcc, v4, v18
	v_mov_b32_e32 v32, s14
	ds_write_b8 v30, v9
	ds_write_b128 v21, v[0:3]
	s_waitcnt lgkmcnt(0)
	s_and_saveexec_b64 s[10:11], vcc
	s_cbranch_execz .LBB1_24
; %bb.12:                               ;   in Loop: Header=BB1_11 Depth=1
	v_lshlrev_b32_e32 v8, 2, v4
	s_mov_b64 s[12:13], 0
	v_mov_b32_e32 v32, s14
	s_branch .LBB1_14
.LBB1_13:                               ;   in Loop: Header=BB1_14 Depth=2
	s_or_b64 exec, exec, s[34:35]
	s_and_b64 s[2:3], exec, s[20:21]
	s_or_b64 s[12:13], s[2:3], s[12:13]
	s_andn2_b64 exec, exec, s[12:13]
	s_cbranch_execz .LBB1_23
.LBB1_14:                               ;   Parent Loop BB1_11 Depth=1
                                        ; =>  This Inner Loop Header: Depth=2
	v_ashrrev_i32_e32 v5, 31, v4
	v_lshlrev_b64 v[12:13], 2, v[4:5]
	v_mov_b32_e32 v5, s19
	v_add_co_u32_e32 v12, vcc, s18, v12
	v_addc_co_u32_e32 v13, vcc, v5, v13, vcc
	global_load_dword v5, v[12:13], off
	s_waitcnt vmcnt(0)
	v_subrev_u32_e32 v7, s8, v5
	v_sub_u32_e32 v5, v7, v22
	v_cmp_gt_u32_e64 s[2:3], 64, v5
	v_cmp_lt_u32_e32 vcc, 63, v5
	s_and_saveexec_b64 s[20:21], vcc
	s_xor_b64 s[20:21], exec, s[20:21]
; %bb.15:                               ;   in Loop: Header=BB1_14 Depth=2
	v_min_i32_e32 v32, v7, v32
                                        ; implicit-def: $vgpr5
; %bb.16:                               ;   in Loop: Header=BB1_14 Depth=2
	s_andn2_saveexec_b64 s[20:21], s[20:21]
	s_cbranch_execz .LBB1_21
; %bb.17:                               ;   in Loop: Header=BB1_14 Depth=2
	v_lshlrev_b64 v[12:13], 2, v[8:9]
	v_mov_b32_e32 v7, s7
	v_add_co_u32_e32 v12, vcc, s6, v12
	v_addc_co_u32_e32 v13, vcc, v7, v13, vcc
	global_load_dword v7, v[12:13], off
	v_add_u32_e32 v14, v16, v5
	v_lshlrev_b32_e32 v5, 4, v5
	s_and_b64 vcc, exec, s[0:1]
	v_add_u32_e32 v5, v17, v5
	s_mov_b64 s[34:35], -1
	ds_write_b8 v14, v31
	s_waitcnt vmcnt(0)
	v_mul_f32_e32 v7, s28, v7
	ds_write_b32 v5, v7
	s_cbranch_vccnz .LBB1_19
; %bb.18:                               ;   in Loop: Header=BB1_14 Depth=2
	global_load_dwordx3 v[33:35], v[12:13], off offset:4
	s_mov_b64 s[34:35], 0
	s_waitcnt vmcnt(0)
	v_mul_f32_e32 v7, s28, v34
	v_mul_f32_e32 v14, s28, v33
	;; [unrolled: 1-line block ×3, first 2 shown]
	ds_write2_b32 v5, v7, v14 offset0:1 offset1:2
	ds_write_b32 v5, v15 offset:12
.LBB1_19:                               ;   in Loop: Header=BB1_14 Depth=2
	s_andn2_b64 vcc, exec, s[34:35]
	s_cbranch_vccnz .LBB1_21
; %bb.20:                               ;   in Loop: Header=BB1_14 Depth=2
	global_load_dwordx3 v[12:14], v[12:13], off offset:4
	s_waitcnt vmcnt(0)
	v_mul_f32_e32 v7, s28, v12
	v_mul_f32_e32 v12, s28, v13
	;; [unrolled: 1-line block ×3, first 2 shown]
	ds_write2_b32 v5, v7, v12 offset0:1 offset1:2
	ds_write_b32 v5, v13 offset:12
.LBB1_21:                               ;   in Loop: Header=BB1_14 Depth=2
	s_or_b64 exec, exec, s[20:21]
	s_mov_b64 s[20:21], -1
	s_and_saveexec_b64 s[34:35], s[2:3]
	s_cbranch_execz .LBB1_13
; %bb.22:                               ;   in Loop: Header=BB1_14 Depth=2
	v_add_u32_e32 v4, 64, v4
	v_cmp_ge_i32_e32 vcc, v4, v18
	v_add_u32_e32 v8, 0x100, v8
	s_orn2_b64 s[20:21], vcc, exec
	s_branch .LBB1_13
.LBB1_23:                               ;   in Loop: Header=BB1_11 Depth=1
	s_or_b64 exec, exec, s[12:13]
.LBB1_24:                               ;   in Loop: Header=BB1_11 Depth=1
	s_or_b64 exec, exec, s[10:11]
	v_cmp_lt_i32_e32 vcc, v6, v19
	s_waitcnt lgkmcnt(0)
	s_and_saveexec_b64 s[10:11], vcc
	s_cbranch_execz .LBB1_37
; %bb.25:                               ;   in Loop: Header=BB1_11 Depth=1
	v_lshlrev_b32_e32 v8, 2, v6
	s_mov_b64 s[12:13], 0
	s_branch .LBB1_27
.LBB1_26:                               ;   in Loop: Header=BB1_27 Depth=2
	s_or_b64 exec, exec, s[34:35]
	s_and_b64 s[2:3], exec, s[20:21]
	s_or_b64 s[12:13], s[2:3], s[12:13]
	s_andn2_b64 exec, exec, s[12:13]
	s_cbranch_execz .LBB1_36
.LBB1_27:                               ;   Parent Loop BB1_11 Depth=1
                                        ; =>  This Inner Loop Header: Depth=2
	v_ashrrev_i32_e32 v7, 31, v6
	v_lshlrev_b64 v[12:13], 2, v[6:7]
	v_mov_b32_e32 v5, s23
	v_add_co_u32_e32 v12, vcc, s22, v12
	v_addc_co_u32_e32 v13, vcc, v5, v13, vcc
	global_load_dword v5, v[12:13], off
	s_waitcnt vmcnt(0)
	v_subrev_u32_e32 v5, s9, v5
	v_sub_u32_e32 v7, v5, v22
	v_cmp_gt_u32_e64 s[2:3], 64, v7
	v_cmp_lt_u32_e32 vcc, 63, v7
	s_and_saveexec_b64 s[20:21], vcc
	s_xor_b64 s[20:21], exec, s[20:21]
; %bb.28:                               ;   in Loop: Header=BB1_27 Depth=2
	v_min_i32_e32 v32, v5, v32
                                        ; implicit-def: $vgpr7
; %bb.29:                               ;   in Loop: Header=BB1_27 Depth=2
	s_andn2_saveexec_b64 s[20:21], s[20:21]
	s_cbranch_execz .LBB1_34
; %bb.30:                               ;   in Loop: Header=BB1_27 Depth=2
	v_lshlrev_b64 v[12:13], 2, v[8:9]
	v_mov_b32_e32 v5, s17
	v_add_co_u32_e32 v14, vcc, s16, v12
	v_addc_co_u32_e32 v15, vcc, v5, v13, vcc
	global_load_dword v33, v[14:15], off
	v_lshlrev_b32_e32 v5, 4, v7
	v_add_u32_e32 v5, v17, v5
	ds_read_b64 v[12:13], v5
	v_add_u32_e32 v7, v16, v7
	s_and_b64 vcc, exec, s[0:1]
	ds_write_b8 v7, v31
	s_mov_b64 s[34:35], -1
	s_waitcnt vmcnt(0) lgkmcnt(1)
	v_fma_f32 v7, s30, v33, v12
	ds_write_b32 v5, v7
	s_cbranch_vccnz .LBB1_32
; %bb.31:                               ;   in Loop: Header=BB1_27 Depth=2
	global_load_dwordx3 v[33:35], v[14:15], off offset:4
	ds_read_b64 v[36:37], v5 offset:8
	s_mov_b64 s[34:35], 0
	s_waitcnt vmcnt(0)
	v_fma_f32 v7, s30, v34, v13
	s_waitcnt lgkmcnt(0)
	v_fma_f32 v12, s30, v33, v36
	v_fmac_f32_e32 v37, s30, v35
	ds_write2_b32 v5, v7, v12 offset0:1 offset1:2
	ds_write_b32 v5, v37 offset:12
.LBB1_32:                               ;   in Loop: Header=BB1_27 Depth=2
	s_andn2_b64 vcc, exec, s[34:35]
	s_cbranch_vccnz .LBB1_34
; %bb.33:                               ;   in Loop: Header=BB1_27 Depth=2
	global_load_dwordx3 v[33:35], v[14:15], off offset:4
	ds_read_b64 v[14:15], v5 offset:8
	s_waitcnt vmcnt(0)
	v_fmac_f32_e32 v13, s30, v33
	s_waitcnt lgkmcnt(0)
	v_fma_f32 v7, s30, v34, v14
	v_fmac_f32_e32 v15, s30, v35
	ds_write2_b32 v5, v13, v7 offset0:1 offset1:2
	ds_write_b32 v5, v15 offset:12
.LBB1_34:                               ;   in Loop: Header=BB1_27 Depth=2
	s_or_b64 exec, exec, s[20:21]
	s_mov_b64 s[20:21], -1
	s_and_saveexec_b64 s[34:35], s[2:3]
	s_cbranch_execz .LBB1_26
; %bb.35:                               ;   in Loop: Header=BB1_27 Depth=2
	v_add_u32_e32 v6, 64, v6
	v_cmp_ge_i32_e32 vcc, v6, v19
	v_add_u32_e32 v8, 0x100, v8
	s_orn2_b64 s[20:21], vcc, exec
	s_branch .LBB1_26
.LBB1_36:                               ;   in Loop: Header=BB1_11 Depth=1
	s_or_b64 exec, exec, s[12:13]
.LBB1_37:                               ;   in Loop: Header=BB1_11 Depth=1
	s_or_b64 exec, exec, s[10:11]
	s_waitcnt lgkmcnt(0)
	ds_read_u8 v5, v30
	s_waitcnt lgkmcnt(0)
	v_and_b32_e32 v7, 1, v5
	v_cmp_eq_u32_e64 s[2:3], 1, v7
	v_cmp_ne_u16_e32 vcc, 0, v5
	s_and_saveexec_b64 s[10:11], s[2:3]
	s_cbranch_execz .LBB1_10
; %bb.38:                               ;   in Loop: Header=BB1_11 Depth=1
	v_and_b32_e32 v7, vcc_lo, v10
	v_and_b32_e32 v5, vcc_hi, v11
	v_bcnt_u32_b32 v7, v7, 0
	v_bcnt_u32_b32 v5, v5, v7
	v_add3_u32 v7, v20, v5, -1
	v_ashrrev_i32_e32 v8, 31, v7
	v_lshlrev_b64 v[12:13], 2, v[7:8]
	v_mov_b32_e32 v5, s25
	v_add_co_u32_e64 v12, s[2:3], s24, v12
	v_add_u32_e32 v14, v23, v22
	v_addc_co_u32_e64 v13, s[2:3], v5, v13, s[2:3]
	global_store_dword v[12:13], v14, off
	v_add_u32_e32 v12, s15, v21
	v_add_u32_e32 v14, s29, v21
	ds_read_b32 v13, v12
	ds_read_b32 v14, v14
	ds_read2_b32 v[33:34], v21 offset1:3
	v_lshlrev_b32_e32 v8, 2, v7
	v_lshlrev_b64 v[7:8], 2, v[8:9]
	v_mov_b32_e32 v5, s27
	v_add_co_u32_e64 v7, s[2:3], s26, v7
	v_addc_co_u32_e64 v8, s[2:3], v5, v8, s[2:3]
	s_waitcnt lgkmcnt(0)
	v_mov_b32_e32 v12, v33
	v_mov_b32_e32 v15, v34
	global_store_dwordx4 v[7:8], v[12:15], off
	s_branch .LBB1_10
.LBB1_39:
	s_endpgm
	.section	.rodata,"a",@progbits
	.p2align	6, 0x0
	.amdhsa_kernel _ZN9rocsparseL39bsrgeam_wf_per_row_multipass_2_3_kernelILj256ELj2ELj64EfEEv20rocsparse_direction_iiiNS_24const_host_device_scalarIT2_EEPKiS6_PKS3_S4_S6_S6_S8_S6_PiPS3_21rocsparse_index_base_SB_SB_b
		.amdhsa_group_segment_fixed_size 4352
		.amdhsa_private_segment_fixed_size 0
		.amdhsa_kernarg_size 120
		.amdhsa_user_sgpr_count 6
		.amdhsa_user_sgpr_private_segment_buffer 1
		.amdhsa_user_sgpr_dispatch_ptr 0
		.amdhsa_user_sgpr_queue_ptr 0
		.amdhsa_user_sgpr_kernarg_segment_ptr 1
		.amdhsa_user_sgpr_dispatch_id 0
		.amdhsa_user_sgpr_flat_scratch_init 0
		.amdhsa_user_sgpr_private_segment_size 0
		.amdhsa_uses_dynamic_stack 0
		.amdhsa_system_sgpr_private_segment_wavefront_offset 0
		.amdhsa_system_sgpr_workgroup_id_x 1
		.amdhsa_system_sgpr_workgroup_id_y 0
		.amdhsa_system_sgpr_workgroup_id_z 0
		.amdhsa_system_sgpr_workgroup_info 0
		.amdhsa_system_vgpr_workitem_id 0
		.amdhsa_next_free_vgpr 38
		.amdhsa_next_free_sgpr 36
		.amdhsa_reserve_vcc 1
		.amdhsa_reserve_flat_scratch 0
		.amdhsa_float_round_mode_32 0
		.amdhsa_float_round_mode_16_64 0
		.amdhsa_float_denorm_mode_32 3
		.amdhsa_float_denorm_mode_16_64 3
		.amdhsa_dx10_clamp 1
		.amdhsa_ieee_mode 1
		.amdhsa_fp16_overflow 0
		.amdhsa_exception_fp_ieee_invalid_op 0
		.amdhsa_exception_fp_denorm_src 0
		.amdhsa_exception_fp_ieee_div_zero 0
		.amdhsa_exception_fp_ieee_overflow 0
		.amdhsa_exception_fp_ieee_underflow 0
		.amdhsa_exception_fp_ieee_inexact 0
		.amdhsa_exception_int_div_zero 0
	.end_amdhsa_kernel
	.section	.text._ZN9rocsparseL39bsrgeam_wf_per_row_multipass_2_3_kernelILj256ELj2ELj64EfEEv20rocsparse_direction_iiiNS_24const_host_device_scalarIT2_EEPKiS6_PKS3_S4_S6_S6_S8_S6_PiPS3_21rocsparse_index_base_SB_SB_b,"axG",@progbits,_ZN9rocsparseL39bsrgeam_wf_per_row_multipass_2_3_kernelILj256ELj2ELj64EfEEv20rocsparse_direction_iiiNS_24const_host_device_scalarIT2_EEPKiS6_PKS3_S4_S6_S6_S8_S6_PiPS3_21rocsparse_index_base_SB_SB_b,comdat
.Lfunc_end1:
	.size	_ZN9rocsparseL39bsrgeam_wf_per_row_multipass_2_3_kernelILj256ELj2ELj64EfEEv20rocsparse_direction_iiiNS_24const_host_device_scalarIT2_EEPKiS6_PKS3_S4_S6_S6_S8_S6_PiPS3_21rocsparse_index_base_SB_SB_b, .Lfunc_end1-_ZN9rocsparseL39bsrgeam_wf_per_row_multipass_2_3_kernelILj256ELj2ELj64EfEEv20rocsparse_direction_iiiNS_24const_host_device_scalarIT2_EEPKiS6_PKS3_S4_S6_S6_S8_S6_PiPS3_21rocsparse_index_base_SB_SB_b
                                        ; -- End function
	.set _ZN9rocsparseL39bsrgeam_wf_per_row_multipass_2_3_kernelILj256ELj2ELj64EfEEv20rocsparse_direction_iiiNS_24const_host_device_scalarIT2_EEPKiS6_PKS3_S4_S6_S6_S8_S6_PiPS3_21rocsparse_index_base_SB_SB_b.num_vgpr, 38
	.set _ZN9rocsparseL39bsrgeam_wf_per_row_multipass_2_3_kernelILj256ELj2ELj64EfEEv20rocsparse_direction_iiiNS_24const_host_device_scalarIT2_EEPKiS6_PKS3_S4_S6_S6_S8_S6_PiPS3_21rocsparse_index_base_SB_SB_b.num_agpr, 0
	.set _ZN9rocsparseL39bsrgeam_wf_per_row_multipass_2_3_kernelILj256ELj2ELj64EfEEv20rocsparse_direction_iiiNS_24const_host_device_scalarIT2_EEPKiS6_PKS3_S4_S6_S6_S8_S6_PiPS3_21rocsparse_index_base_SB_SB_b.numbered_sgpr, 36
	.set _ZN9rocsparseL39bsrgeam_wf_per_row_multipass_2_3_kernelILj256ELj2ELj64EfEEv20rocsparse_direction_iiiNS_24const_host_device_scalarIT2_EEPKiS6_PKS3_S4_S6_S6_S8_S6_PiPS3_21rocsparse_index_base_SB_SB_b.num_named_barrier, 0
	.set _ZN9rocsparseL39bsrgeam_wf_per_row_multipass_2_3_kernelILj256ELj2ELj64EfEEv20rocsparse_direction_iiiNS_24const_host_device_scalarIT2_EEPKiS6_PKS3_S4_S6_S6_S8_S6_PiPS3_21rocsparse_index_base_SB_SB_b.private_seg_size, 0
	.set _ZN9rocsparseL39bsrgeam_wf_per_row_multipass_2_3_kernelILj256ELj2ELj64EfEEv20rocsparse_direction_iiiNS_24const_host_device_scalarIT2_EEPKiS6_PKS3_S4_S6_S6_S8_S6_PiPS3_21rocsparse_index_base_SB_SB_b.uses_vcc, 1
	.set _ZN9rocsparseL39bsrgeam_wf_per_row_multipass_2_3_kernelILj256ELj2ELj64EfEEv20rocsparse_direction_iiiNS_24const_host_device_scalarIT2_EEPKiS6_PKS3_S4_S6_S6_S8_S6_PiPS3_21rocsparse_index_base_SB_SB_b.uses_flat_scratch, 0
	.set _ZN9rocsparseL39bsrgeam_wf_per_row_multipass_2_3_kernelILj256ELj2ELj64EfEEv20rocsparse_direction_iiiNS_24const_host_device_scalarIT2_EEPKiS6_PKS3_S4_S6_S6_S8_S6_PiPS3_21rocsparse_index_base_SB_SB_b.has_dyn_sized_stack, 0
	.set _ZN9rocsparseL39bsrgeam_wf_per_row_multipass_2_3_kernelILj256ELj2ELj64EfEEv20rocsparse_direction_iiiNS_24const_host_device_scalarIT2_EEPKiS6_PKS3_S4_S6_S6_S8_S6_PiPS3_21rocsparse_index_base_SB_SB_b.has_recursion, 0
	.set _ZN9rocsparseL39bsrgeam_wf_per_row_multipass_2_3_kernelILj256ELj2ELj64EfEEv20rocsparse_direction_iiiNS_24const_host_device_scalarIT2_EEPKiS6_PKS3_S4_S6_S6_S8_S6_PiPS3_21rocsparse_index_base_SB_SB_b.has_indirect_call, 0
	.section	.AMDGPU.csdata,"",@progbits
; Kernel info:
; codeLenInByte = 1688
; TotalNumSgprs: 40
; NumVgprs: 38
; ScratchSize: 0
; MemoryBound: 0
; FloatMode: 240
; IeeeMode: 1
; LDSByteSize: 4352 bytes/workgroup (compile time only)
; SGPRBlocks: 4
; VGPRBlocks: 9
; NumSGPRsForWavesPerEU: 40
; NumVGPRsForWavesPerEU: 38
; Occupancy: 6
; WaveLimiterHint : 1
; COMPUTE_PGM_RSRC2:SCRATCH_EN: 0
; COMPUTE_PGM_RSRC2:USER_SGPR: 6
; COMPUTE_PGM_RSRC2:TRAP_HANDLER: 0
; COMPUTE_PGM_RSRC2:TGID_X_EN: 1
; COMPUTE_PGM_RSRC2:TGID_Y_EN: 0
; COMPUTE_PGM_RSRC2:TGID_Z_EN: 0
; COMPUTE_PGM_RSRC2:TIDIG_COMP_CNT: 0
	.section	.text._ZN9rocsparseL39bsrgeam_wf_per_row_multipass_2_3_kernelILj256ELj3ELj32EfEEv20rocsparse_direction_iiiNS_24const_host_device_scalarIT2_EEPKiS6_PKS3_S4_S6_S6_S8_S6_PiPS3_21rocsparse_index_base_SB_SB_b,"axG",@progbits,_ZN9rocsparseL39bsrgeam_wf_per_row_multipass_2_3_kernelILj256ELj3ELj32EfEEv20rocsparse_direction_iiiNS_24const_host_device_scalarIT2_EEPKiS6_PKS3_S4_S6_S6_S8_S6_PiPS3_21rocsparse_index_base_SB_SB_b,comdat
	.globl	_ZN9rocsparseL39bsrgeam_wf_per_row_multipass_2_3_kernelILj256ELj3ELj32EfEEv20rocsparse_direction_iiiNS_24const_host_device_scalarIT2_EEPKiS6_PKS3_S4_S6_S6_S8_S6_PiPS3_21rocsparse_index_base_SB_SB_b ; -- Begin function _ZN9rocsparseL39bsrgeam_wf_per_row_multipass_2_3_kernelILj256ELj3ELj32EfEEv20rocsparse_direction_iiiNS_24const_host_device_scalarIT2_EEPKiS6_PKS3_S4_S6_S6_S8_S6_PiPS3_21rocsparse_index_base_SB_SB_b
	.p2align	8
	.type	_ZN9rocsparseL39bsrgeam_wf_per_row_multipass_2_3_kernelILj256ELj3ELj32EfEEv20rocsparse_direction_iiiNS_24const_host_device_scalarIT2_EEPKiS6_PKS3_S4_S6_S6_S8_S6_PiPS3_21rocsparse_index_base_SB_SB_b,@function
_ZN9rocsparseL39bsrgeam_wf_per_row_multipass_2_3_kernelILj256ELj3ELj32EfEEv20rocsparse_direction_iiiNS_24const_host_device_scalarIT2_EEPKiS6_PKS3_S4_S6_S6_S8_S6_PiPS3_21rocsparse_index_base_SB_SB_b: ; @_ZN9rocsparseL39bsrgeam_wf_per_row_multipass_2_3_kernelILj256ELj3ELj32EfEEv20rocsparse_direction_iiiNS_24const_host_device_scalarIT2_EEPKiS6_PKS3_S4_S6_S6_S8_S6_PiPS3_21rocsparse_index_base_SB_SB_b
; %bb.0:
	s_load_dwordx4 s[8:11], s[4:5], 0x68
	s_load_dwordx2 s[28:29], s[4:5], 0x10
	s_load_dwordx2 s[30:31], s[4:5], 0x30
	s_waitcnt lgkmcnt(0)
	s_bitcmp1_b32 s11, 0
	s_cselect_b64 s[2:3], -1, 0
	s_xor_b64 s[0:1], s[2:3], -1
	s_and_b64 vcc, exec, s[2:3]
	s_cbranch_vccnz .LBB2_2
; %bb.1:
	s_load_dword s28, s[28:29], 0x0
.LBB2_2:
	s_andn2_b64 vcc, exec, s[0:1]
	s_cbranch_vccnz .LBB2_4
; %bb.3:
	s_load_dword s30, s[30:31], 0x0
.LBB2_4:
	s_nop 0
	s_load_dwordx4 s[12:15], s[4:5], 0x0
	s_lshl_b32 s0, s6, 3
	v_lshrrev_b32_e32 v8, 5, v0
	s_and_b32 s0, s0, 0x7fffff8
	v_or_b32_e32 v1, s0, v8
	s_waitcnt lgkmcnt(0)
	v_cmp_gt_i32_e32 vcc, s13, v1
	s_and_saveexec_b64 s[0:1], vcc
	s_cbranch_execz .LBB2_39
; %bb.5:
	s_load_dwordx4 s[16:19], s[4:5], 0x18
	s_load_dwordx4 s[20:23], s[4:5], 0x38
	s_load_dwordx2 s[0:1], s[4:5], 0x50
	v_lshlrev_b32_e32 v5, 2, v1
	s_waitcnt lgkmcnt(0)
	global_load_dwordx2 v[1:2], v5, s[16:17]
	global_load_dwordx2 v[3:4], v5, s[20:21]
	global_load_dword v9, v5, s[0:1]
	s_waitcnt vmcnt(2)
	v_subrev_u32_e32 v5, s8, v1
	v_cmp_lt_i32_e32 vcc, v1, v2
	v_mov_b32_e32 v1, s14
	s_and_saveexec_b64 s[0:1], vcc
	s_cbranch_execz .LBB2_7
; %bb.6:
	v_ashrrev_i32_e32 v6, 31, v5
	v_lshlrev_b64 v[6:7], 2, v[5:6]
	v_mov_b32_e32 v1, s19
	v_add_co_u32_e32 v6, vcc, s18, v6
	v_addc_co_u32_e32 v7, vcc, v1, v7, vcc
	global_load_dword v1, v[6:7], off
	s_waitcnt vmcnt(0)
	v_subrev_u32_e32 v1, s8, v1
.LBB2_7:
	s_or_b64 exec, exec, s[0:1]
	s_load_dwordx4 s[24:27], s[4:5], 0x58
	s_load_dwordx2 s[6:7], s[4:5], 0x28
	s_load_dwordx2 s[16:17], s[4:5], 0x48
	s_waitcnt vmcnt(1)
	v_subrev_u32_e32 v6, s9, v3
	v_cmp_lt_i32_e32 vcc, v3, v4
	v_mov_b32_e32 v3, s14
	s_and_saveexec_b64 s[0:1], vcc
	s_cbranch_execz .LBB2_9
; %bb.8:
	v_ashrrev_i32_e32 v7, 31, v6
	v_lshlrev_b64 v[10:11], 2, v[6:7]
	v_mov_b32_e32 v3, s23
	v_add_co_u32_e32 v10, vcc, s22, v10
	v_addc_co_u32_e32 v11, vcc, v3, v11, vcc
	global_load_dword v3, v[10:11], off
	s_waitcnt vmcnt(0)
	v_subrev_u32_e32 v3, s9, v3
.LBB2_9:
	s_or_b64 exec, exec, s[0:1]
	v_and_b32_e32 v7, 0xe0, v0
	v_or_b32_e32 v20, 0x2400, v7
	v_and_b32_e32 v7, 31, v0
	s_movk_i32 s0, 0x480
	v_min_i32_e32 v42, v3, v1
	v_mul_u32_u24_e32 v1, 36, v7
	v_mad_u32_u24 v25, v8, s0, v1
	v_mbcnt_lo_u32_b32 v1, -1, 0
	v_mbcnt_hi_u32_b32 v1, -1, v1
	v_add_u32_e32 v0, v5, v7
	v_and_b32_e32 v3, 64, v1
	v_xor_b32_e32 v5, 31, v7
	v_add_u32_e32 v3, 64, v3
	v_lshrrev_b32_e64 v26, v5, -1
	v_xor_b32_e32 v5, 16, v1
	v_cmp_lt_i32_e32 vcc, v5, v3
	v_cndmask_b32_e32 v5, v1, v5, vcc
	v_lshlrev_b32_e32 v28, 2, v5
	v_xor_b32_e32 v5, 8, v1
	v_cmp_lt_i32_e32 vcc, v5, v3
	v_cndmask_b32_e32 v5, v1, v5, vcc
	v_lshlrev_b32_e32 v29, 2, v5
	;; [unrolled: 4-line block ×4, first 2 shown]
	v_xor_b32_e32 v5, 1, v1
	s_cmp_lg_u32 s12, 0
	v_cmp_lt_i32_e32 vcc, v5, v3
	s_cselect_b64 s[0:1], -1, 0
	s_cmp_eq_u32 s12, 0
	v_cndmask_b32_e32 v1, v1, v5, vcc
	v_lshlrev_b32_e32 v32, 2, v1
	s_cselect_b32 s2, 4, 12
	s_cselect_b32 s3, 8, 24
	;; [unrolled: 1-line block ×6, first 2 shown]
	v_cndmask_b32_e64 v1, 0, 1, s[0:1]
	v_mul_u32_u24_e32 v21, 0x480, v8
	v_subrev_u32_e32 v22, s8, v2
	v_subrev_u32_e32 v23, s9, v4
	s_waitcnt vmcnt(0)
	v_subrev_u32_e32 v24, s10, v9
	v_add_u32_e32 v2, v6, v7
	v_mov_b32_e32 v4, 0
	v_add_u32_e32 v27, s10, v7
	s_mov_b64 s[10:11], 0
	v_add_u32_e32 v33, v20, v7
	v_mov_b32_e32 v34, 1
	v_cmp_ne_u32_e64 s[0:1], 1, v1
	v_add_u32_e32 v35, s2, v25
	v_add_u32_e32 v36, s3, v25
	;; [unrolled: 1-line block ×6, first 2 shown]
	s_branch .LBB2_11
.LBB2_10:                               ;   in Loop: Header=BB2_11 Depth=1
	s_or_b64 exec, exec, s[4:5]
	ds_bpermute_b32 v1, v28, v41
	s_bcnt1_i32_b64 s2, vcc
	v_add_u32_e32 v24, s2, v24
	s_waitcnt lgkmcnt(0)
	v_min_i32_e32 v1, v1, v41
	ds_bpermute_b32 v3, v29, v1
	s_waitcnt lgkmcnt(0)
	v_min_i32_e32 v1, v3, v1
	ds_bpermute_b32 v3, v30, v1
	;; [unrolled: 3-line block ×4, first 2 shown]
	s_waitcnt lgkmcnt(0)
	v_min_i32_e32 v42, v3, v1
	v_cmp_le_i32_e32 vcc, s14, v42
	s_or_b64 s[10:11], vcc, s[10:11]
	s_andn2_b64 exec, exec, s[10:11]
	s_cbranch_execz .LBB2_39
.LBB2_11:                               ; =>This Loop Header: Depth=1
                                        ;     Child Loop BB2_14 Depth 2
                                        ;     Child Loop BB2_27 Depth 2
	v_cmp_lt_i32_e32 vcc, v0, v22
	v_mov_b32_e32 v41, s14
	ds_write_b8 v33, v4
	ds_write2_b32 v25, v4, v4 offset1:1
	ds_write2_b32 v25, v4, v4 offset0:2 offset1:3
	ds_write2_b32 v25, v4, v4 offset0:4 offset1:5
	;; [unrolled: 1-line block ×3, first 2 shown]
	ds_write_b32 v25, v4 offset:32
	s_waitcnt lgkmcnt(0)
	s_and_saveexec_b64 s[12:13], vcc
	s_cbranch_execz .LBB2_24
; %bb.12:                               ;   in Loop: Header=BB2_11 Depth=1
	v_mad_u64_u32 v[5:6], s[2:3], v0, 9, 8
	s_mov_b64 s[20:21], 0
	v_mov_b32_e32 v41, s14
	s_branch .LBB2_14
.LBB2_13:                               ;   in Loop: Header=BB2_14 Depth=2
	s_or_b64 exec, exec, s[34:35]
	s_and_b64 s[2:3], exec, s[4:5]
	s_or_b64 s[20:21], s[2:3], s[20:21]
	s_andn2_b64 exec, exec, s[20:21]
	s_cbranch_execz .LBB2_23
.LBB2_14:                               ;   Parent Loop BB2_11 Depth=1
                                        ; =>  This Inner Loop Header: Depth=2
	v_ashrrev_i32_e32 v1, 31, v0
	v_lshlrev_b64 v[6:7], 2, v[0:1]
	v_mov_b32_e32 v1, s19
	v_add_co_u32_e32 v6, vcc, s18, v6
	v_addc_co_u32_e32 v7, vcc, v1, v7, vcc
	global_load_dword v1, v[6:7], off
	s_waitcnt vmcnt(0)
	v_subrev_u32_e32 v3, s8, v1
	v_sub_u32_e32 v1, v3, v42
	v_cmp_gt_u32_e64 s[2:3], 32, v1
	v_cmp_lt_u32_e32 vcc, 31, v1
	s_and_saveexec_b64 s[4:5], vcc
	s_xor_b64 s[4:5], exec, s[4:5]
; %bb.15:                               ;   in Loop: Header=BB2_14 Depth=2
	v_min_i32_e32 v41, v3, v41
                                        ; implicit-def: $vgpr1
; %bb.16:                               ;   in Loop: Header=BB2_14 Depth=2
	s_andn2_saveexec_b64 s[34:35], s[4:5]
	s_cbranch_execz .LBB2_21
; %bb.17:                               ;   in Loop: Header=BB2_14 Depth=2
	v_add_u32_e32 v3, -8, v5
	v_lshlrev_b64 v[6:7], 2, v[3:4]
	v_mov_b32_e32 v3, s7
	v_add_co_u32_e32 v6, vcc, s6, v6
	v_addc_co_u32_e32 v7, vcc, v3, v7, vcc
	global_load_dword v6, v[6:7], off
	v_add_u32_e32 v3, v20, v1
	v_mul_lo_u32 v1, v1, 36
	ds_write_b8 v3, v34
	v_add_u32_e32 v3, -4, v5
	v_lshlrev_b64 v[7:8], 2, v[3:4]
	v_mov_b32_e32 v10, s7
	v_add_co_u32_e64 v7, s[4:5], s6, v7
	s_mov_b64 s[36:37], -1
	s_and_b64 vcc, exec, s[0:1]
	v_add_u32_e32 v11, -2, v5
	v_add_u32_e32 v17, -7, v5
	;; [unrolled: 1-line block ×5, first 2 shown]
	v_add_u32_e32 v1, v21, v1
	v_addc_co_u32_e64 v8, s[4:5], v10, v8, s[4:5]
	v_add_u32_e32 v13, -3, v5
	s_waitcnt vmcnt(0)
	v_mul_f32_e32 v6, s28, v6
	ds_write_b32 v1, v6
	s_cbranch_vccnz .LBB2_19
; %bb.18:                               ;   in Loop: Header=BB2_14 Depth=2
	v_lshlrev_b64 v[18:19], 2, v[3:4]
	v_mov_b32_e32 v6, s7
	v_add_co_u32_e32 v43, vcc, s6, v18
	v_mov_b32_e32 v12, v4
	v_addc_co_u32_e32 v44, vcc, v6, v19, vcc
	v_lshlrev_b64 v[18:19], 2, v[11:12]
	v_mov_b32_e32 v10, v4
	v_add_co_u32_e32 v45, vcc, s6, v18
	v_mov_b32_e32 v18, v4
	v_addc_co_u32_e32 v46, vcc, v6, v19, vcc
	v_lshlrev_b64 v[18:19], 2, v[17:18]
	v_lshlrev_b64 v[47:48], 2, v[9:10]
	v_add_co_u32_e32 v18, vcc, s6, v18
	v_addc_co_u32_e32 v19, vcc, v6, v19, vcc
	v_mov_b32_e32 v16, v4
	v_add_co_u32_e32 v47, vcc, s6, v47
	v_lshlrev_b64 v[49:50], 2, v[15:16]
	v_addc_co_u32_e32 v48, vcc, v6, v48, vcc
	v_mov_b32_e32 v14, v4
	v_add_co_u32_e32 v49, vcc, s6, v49
	v_lshlrev_b64 v[51:52], 2, v[13:14]
	v_addc_co_u32_e32 v50, vcc, v6, v50, vcc
	v_add_co_u32_e32 v51, vcc, s6, v51
	v_addc_co_u32_e32 v52, vcc, v6, v52, vcc
	v_mov_b32_e32 v6, v4
	v_lshlrev_b64 v[53:54], 2, v[5:6]
	v_mov_b32_e32 v6, s7
	v_add_co_u32_e32 v53, vcc, s6, v53
	v_addc_co_u32_e32 v54, vcc, v6, v54, vcc
	global_load_dword v6, v[7:8], off
	global_load_dword v10, v[43:44], off
	;; [unrolled: 1-line block ×8, first 2 shown]
	s_mov_b64 s[36:37], 0
	s_waitcnt vmcnt(7)
	v_mul_f32_e32 v6, s28, v6
	s_waitcnt vmcnt(6)
	v_mul_f32_e32 v10, s28, v10
	;; [unrolled: 2-line block ×8, first 2 shown]
	ds_write2_b32 v1, v10, v12 offset0:1 offset1:2
	ds_write2_b32 v1, v14, v6 offset0:3 offset1:4
	ds_write2_b32 v1, v16, v18 offset0:5 offset1:6
	ds_write2_b32 v1, v19, v43 offset0:7 offset1:8
.LBB2_19:                               ;   in Loop: Header=BB2_14 Depth=2
	s_andn2_b64 vcc, exec, s[36:37]
	s_cbranch_vccnz .LBB2_21
; %bb.20:                               ;   in Loop: Header=BB2_14 Depth=2
	v_mov_b32_e32 v18, v4
	v_lshlrev_b64 v[16:17], 2, v[17:18]
	v_mov_b32_e32 v6, s7
	v_add_co_u32_e32 v18, vcc, s6, v16
	v_mov_b32_e32 v16, v4
	v_lshlrev_b64 v[14:15], 2, v[15:16]
	v_addc_co_u32_e32 v19, vcc, v6, v17, vcc
	v_add_co_u32_e32 v16, vcc, s6, v14
	v_addc_co_u32_e32 v17, vcc, v6, v15, vcc
	v_lshlrev_b64 v[14:15], 2, v[3:4]
	v_mov_b32_e32 v3, s7
	v_add_co_u32_e32 v43, vcc, s6, v14
	v_mov_b32_e32 v14, v4
	v_lshlrev_b64 v[12:13], 2, v[13:14]
	v_addc_co_u32_e32 v44, vcc, v3, v15, vcc
	v_add_co_u32_e32 v14, vcc, s6, v12
	v_mov_b32_e32 v12, v4
	v_lshlrev_b64 v[10:11], 2, v[11:12]
	v_addc_co_u32_e32 v15, vcc, v3, v13, vcc
	;; [unrolled: 4-line block ×3, first 2 shown]
	v_mov_b32_e32 v6, v4
	v_add_co_u32_e32 v9, vcc, s6, v9
	v_lshlrev_b64 v[45:46], 2, v[5:6]
	v_addc_co_u32_e32 v10, vcc, v3, v10, vcc
	v_add_co_u32_e32 v45, vcc, s6, v45
	v_addc_co_u32_e32 v46, vcc, v3, v46, vcc
	global_load_dword v3, v[18:19], off
	global_load_dword v6, v[16:17], off
	;; [unrolled: 1-line block ×8, first 2 shown]
	s_waitcnt vmcnt(7)
	v_mul_f32_e32 v3, s28, v3
	s_waitcnt vmcnt(6)
	v_mul_f32_e32 v6, s28, v6
	;; [unrolled: 2-line block ×8, first 2 shown]
	ds_write2_b32 v1, v3, v6 offset0:1 offset1:2
	ds_write2_b32 v1, v7, v8 offset0:3 offset1:4
	;; [unrolled: 1-line block ×4, first 2 shown]
.LBB2_21:                               ;   in Loop: Header=BB2_14 Depth=2
	s_or_b64 exec, exec, s[34:35]
	s_mov_b64 s[4:5], -1
	s_and_saveexec_b64 s[34:35], s[2:3]
	s_cbranch_execz .LBB2_13
; %bb.22:                               ;   in Loop: Header=BB2_14 Depth=2
	v_add_u32_e32 v0, 32, v0
	v_cmp_ge_i32_e32 vcc, v0, v22
	v_add_u32_e32 v5, 0x120, v5
	s_orn2_b64 s[4:5], vcc, exec
	s_branch .LBB2_13
.LBB2_23:                               ;   in Loop: Header=BB2_11 Depth=1
	s_or_b64 exec, exec, s[20:21]
.LBB2_24:                               ;   in Loop: Header=BB2_11 Depth=1
	s_or_b64 exec, exec, s[12:13]
	v_cmp_lt_i32_e32 vcc, v2, v23
	s_waitcnt lgkmcnt(0)
	s_and_saveexec_b64 s[12:13], vcc
	s_cbranch_execz .LBB2_37
; %bb.25:                               ;   in Loop: Header=BB2_11 Depth=1
	v_mad_u64_u32 v[5:6], s[2:3], v2, 9, 8
	s_mov_b64 s[20:21], 0
	s_branch .LBB2_27
.LBB2_26:                               ;   in Loop: Header=BB2_27 Depth=2
	s_or_b64 exec, exec, s[34:35]
	s_and_b64 s[2:3], exec, s[4:5]
	s_or_b64 s[20:21], s[2:3], s[20:21]
	s_andn2_b64 exec, exec, s[20:21]
	s_cbranch_execz .LBB2_36
.LBB2_27:                               ;   Parent Loop BB2_11 Depth=1
                                        ; =>  This Inner Loop Header: Depth=2
	v_ashrrev_i32_e32 v3, 31, v2
	v_lshlrev_b64 v[6:7], 2, v[2:3]
	v_mov_b32_e32 v1, s23
	v_add_co_u32_e32 v6, vcc, s22, v6
	v_addc_co_u32_e32 v7, vcc, v1, v7, vcc
	global_load_dword v1, v[6:7], off
	s_waitcnt vmcnt(0)
	v_subrev_u32_e32 v3, s9, v1
	v_sub_u32_e32 v1, v3, v42
	v_cmp_gt_u32_e64 s[2:3], 32, v1
	v_cmp_lt_u32_e32 vcc, 31, v1
	s_and_saveexec_b64 s[4:5], vcc
	s_xor_b64 s[4:5], exec, s[4:5]
; %bb.28:                               ;   in Loop: Header=BB2_27 Depth=2
	v_min_i32_e32 v41, v3, v41
                                        ; implicit-def: $vgpr1
; %bb.29:                               ;   in Loop: Header=BB2_27 Depth=2
	s_andn2_saveexec_b64 s[34:35], s[4:5]
	s_cbranch_execz .LBB2_34
; %bb.30:                               ;   in Loop: Header=BB2_27 Depth=2
	v_add_u32_e32 v3, -8, v5
	v_lshlrev_b64 v[6:7], 2, v[3:4]
	v_mov_b32_e32 v3, s17
	v_add_co_u32_e32 v6, vcc, s16, v6
	v_addc_co_u32_e32 v7, vcc, v3, v7, vcc
	global_load_dword v9, v[6:7], off
	v_add_u32_e32 v3, v20, v1
	v_mul_lo_u32 v1, v1, 36
	ds_write_b8 v3, v34
	v_add_u32_e32 v3, -4, v5
	v_lshlrev_b64 v[11:12], 2, v[3:4]
	v_add_u32_e32 v1, v21, v1
	ds_read2_b32 v[6:7], v1 offset1:1
	v_mov_b32_e32 v13, s17
	v_add_co_u32_e64 v14, s[4:5], s16, v11
	s_mov_b64 s[36:37], -1
	s_and_b64 vcc, exec, s[0:1]
	v_add_u32_e32 v10, -2, v5
	v_add_u32_e32 v18, -7, v5
	;; [unrolled: 1-line block ×5, first 2 shown]
	v_addc_co_u32_e64 v15, s[4:5], v13, v12, s[4:5]
	v_add_u32_e32 v12, -3, v5
	s_waitcnt vmcnt(0) lgkmcnt(0)
	v_fma_f32 v6, s30, v9, v6
	ds_write_b32 v1, v6
	s_cbranch_vccnz .LBB2_32
; %bb.31:                               ;   in Loop: Header=BB2_27 Depth=2
	v_lshlrev_b64 v[43:44], 2, v[3:4]
	v_mov_b32_e32 v11, v4
	v_mov_b32_e32 v6, s17
	v_add_co_u32_e32 v43, vcc, s16, v43
	v_lshlrev_b64 v[45:46], 2, v[10:11]
	v_addc_co_u32_e32 v44, vcc, v6, v44, vcc
	v_mov_b32_e32 v19, v4
	v_add_co_u32_e32 v45, vcc, s16, v45
	v_lshlrev_b64 v[47:48], 2, v[18:19]
	v_addc_co_u32_e32 v46, vcc, v6, v46, vcc
	;; [unrolled: 4-line block ×5, first 2 shown]
	v_add_co_u32_e32 v53, vcc, s16, v53
	v_addc_co_u32_e32 v54, vcc, v6, v54, vcc
	v_mov_b32_e32 v6, v4
	v_lshlrev_b64 v[55:56], 2, v[5:6]
	v_mov_b32_e32 v6, s17
	v_add_co_u32_e32 v55, vcc, s16, v55
	global_load_dword v11, v[14:15], off
	v_addc_co_u32_e32 v56, vcc, v6, v56, vcc
	global_load_dword v6, v[43:44], off
	global_load_dword v9, v[45:46], off
	;; [unrolled: 1-line block ×7, first 2 shown]
	ds_read2_b32 v[43:44], v1 offset0:4 offset1:5
	ds_read2_b32 v[45:46], v1 offset0:2 offset1:3
	;; [unrolled: 1-line block ×3, first 2 shown]
	ds_read_b32 v49, v1 offset:32
	s_mov_b64 s[36:37], 0
	s_waitcnt vmcnt(6)
	v_fma_f32 v6, s30, v6, v7
	s_waitcnt vmcnt(5) lgkmcnt(2)
	v_fma_f32 v9, s30, v9, v45
	s_waitcnt vmcnt(4)
	v_fmac_f32_e32 v46, s30, v13
	v_fma_f32 v11, s30, v11, v43
	s_waitcnt vmcnt(3)
	v_fmac_f32_e32 v44, s30, v17
	s_waitcnt vmcnt(2) lgkmcnt(1)
	v_fma_f32 v13, s30, v19, v47
	s_waitcnt vmcnt(1)
	v_fmac_f32_e32 v48, s30, v57
	s_waitcnt vmcnt(0) lgkmcnt(0)
	v_fmac_f32_e32 v49, s30, v58
	ds_write2_b32 v1, v6, v9 offset0:1 offset1:2
	ds_write2_b32 v1, v46, v11 offset0:3 offset1:4
	;; [unrolled: 1-line block ×4, first 2 shown]
.LBB2_32:                               ;   in Loop: Header=BB2_27 Depth=2
	s_andn2_b64 vcc, exec, s[36:37]
	s_cbranch_vccnz .LBB2_34
; %bb.33:                               ;   in Loop: Header=BB2_27 Depth=2
	v_mov_b32_e32 v19, v4
	v_lshlrev_b64 v[17:18], 2, v[18:19]
	v_mov_b32_e32 v6, s17
	v_add_co_u32_e32 v43, vcc, s16, v17
	v_mov_b32_e32 v17, v4
	v_lshlrev_b64 v[16:17], 2, v[16:17]
	v_addc_co_u32_e32 v44, vcc, v6, v18, vcc
	v_add_co_u32_e32 v16, vcc, s16, v16
	v_lshlrev_b64 v[18:19], 2, v[3:4]
	v_addc_co_u32_e32 v17, vcc, v6, v17, vcc
	v_mov_b32_e32 v13, v4
	v_mov_b32_e32 v3, s17
	v_add_co_u32_e32 v18, vcc, s16, v18
	v_lshlrev_b64 v[11:12], 2, v[12:13]
	v_addc_co_u32_e32 v19, vcc, v3, v19, vcc
	v_add_co_u32_e32 v13, vcc, s16, v11
	v_mov_b32_e32 v11, v4
	v_lshlrev_b64 v[9:10], 2, v[10:11]
	global_load_dword v3, v[14:15], off
	v_addc_co_u32_e32 v14, vcc, v6, v12, vcc
	v_add_co_u32_e32 v11, vcc, s16, v9
	v_mov_b32_e32 v9, v4
	v_lshlrev_b64 v[8:9], 2, v[8:9]
	v_addc_co_u32_e32 v12, vcc, v6, v10, vcc
	v_add_co_u32_e32 v8, vcc, s16, v8
	v_addc_co_u32_e32 v9, vcc, v6, v9, vcc
	v_mov_b32_e32 v6, v4
	v_lshlrev_b64 v[45:46], 2, v[5:6]
	v_mov_b32_e32 v6, s17
	v_add_co_u32_e32 v45, vcc, s16, v45
	v_addc_co_u32_e32 v46, vcc, v6, v46, vcc
	global_load_dword v6, v[43:44], off
	global_load_dword v15, v[16:17], off
	;; [unrolled: 1-line block ×7, first 2 shown]
	ds_read2_b32 v[8:9], v1 offset0:4 offset1:5
	ds_read2_b32 v[10:11], v1 offset0:2 offset1:3
	;; [unrolled: 1-line block ×3, first 2 shown]
	ds_read_b32 v14, v1 offset:32
	s_waitcnt vmcnt(7) lgkmcnt(3)
	v_fma_f32 v3, s30, v3, v8
	s_waitcnt vmcnt(6)
	v_fmac_f32_e32 v7, s30, v6
	s_waitcnt vmcnt(5) lgkmcnt(2)
	v_fma_f32 v6, s30, v15, v10
	s_waitcnt vmcnt(4)
	v_fmac_f32_e32 v11, s30, v47
	s_waitcnt vmcnt(3)
	v_fmac_f32_e32 v9, s30, v48
	s_waitcnt vmcnt(2) lgkmcnt(1)
	v_fma_f32 v8, s30, v49, v12
	s_waitcnt vmcnt(1)
	v_fmac_f32_e32 v13, s30, v50
	s_waitcnt vmcnt(0) lgkmcnt(0)
	v_fmac_f32_e32 v14, s30, v51
	ds_write2_b32 v1, v7, v6 offset0:1 offset1:2
	ds_write2_b32 v1, v11, v3 offset0:3 offset1:4
	;; [unrolled: 1-line block ×4, first 2 shown]
.LBB2_34:                               ;   in Loop: Header=BB2_27 Depth=2
	s_or_b64 exec, exec, s[34:35]
	s_mov_b64 s[4:5], -1
	s_and_saveexec_b64 s[34:35], s[2:3]
	s_cbranch_execz .LBB2_26
; %bb.35:                               ;   in Loop: Header=BB2_27 Depth=2
	v_add_u32_e32 v2, 32, v2
	v_cmp_ge_i32_e32 vcc, v2, v23
	v_add_u32_e32 v5, 0x120, v5
	s_orn2_b64 s[4:5], vcc, exec
	s_branch .LBB2_26
.LBB2_36:                               ;   in Loop: Header=BB2_11 Depth=1
	s_or_b64 exec, exec, s[20:21]
.LBB2_37:                               ;   in Loop: Header=BB2_11 Depth=1
	s_or_b64 exec, exec, s[12:13]
	s_waitcnt lgkmcnt(0)
	ds_read_u8 v1, v33
	s_waitcnt lgkmcnt(0)
	v_and_b32_e32 v3, 1, v1
	v_cmp_eq_u32_e64 s[2:3], 1, v3
	v_cmp_ne_u16_e32 vcc, 0, v1
	s_and_saveexec_b64 s[4:5], s[2:3]
	s_cbranch_execz .LBB2_10
; %bb.38:                               ;   in Loop: Header=BB2_11 Depth=1
	v_and_b32_e32 v1, vcc_lo, v26
	v_bcnt_u32_b32 v1, v1, 0
	v_add3_u32 v5, v24, v1, -1
	v_ashrrev_i32_e32 v6, 31, v5
	v_lshlrev_b64 v[6:7], 2, v[5:6]
	v_mov_b32_e32 v1, s25
	v_add_co_u32_e64 v6, s[2:3], s24, v6
	v_add_u32_e32 v3, v27, v42
	v_addc_co_u32_e64 v7, s[2:3], v1, v7, s[2:3]
	global_store_dword v[6:7], v3, off
	v_lshl_add_u32 v3, v5, 3, v5
	ds_read2_b32 v[7:8], v25 offset1:4
	v_lshlrev_b64 v[5:6], 2, v[3:4]
	v_mov_b32_e32 v1, s27
	v_add_co_u32_e64 v5, s[2:3], s26, v5
	v_addc_co_u32_e64 v6, s[2:3], v1, v6, s[2:3]
	s_waitcnt lgkmcnt(0)
	global_store_dword v[5:6], v7, off
	v_add_u32_e32 v5, 1, v3
	v_mov_b32_e32 v6, v4
	v_lshlrev_b64 v[5:6], 2, v[5:6]
	v_add_u32_e32 v9, 2, v3
	v_mov_b32_e32 v10, v4
	v_add_co_u32_e64 v5, s[2:3], s26, v5
	v_lshlrev_b64 v[9:10], 2, v[9:10]
	v_addc_co_u32_e64 v6, s[2:3], v1, v6, s[2:3]
	v_add_u32_e32 v11, 3, v3
	v_mov_b32_e32 v12, v4
	v_add_co_u32_e64 v9, s[2:3], s26, v9
	v_lshlrev_b64 v[11:12], 2, v[11:12]
	v_addc_co_u32_e64 v10, s[2:3], v1, v10, s[2:3]
	v_add_u32_e32 v13, 4, v3
	v_mov_b32_e32 v14, v4
	v_add_co_u32_e64 v11, s[2:3], s26, v11
	v_lshlrev_b64 v[13:14], 2, v[13:14]
	v_addc_co_u32_e64 v12, s[2:3], v1, v12, s[2:3]
	v_add_u32_e32 v15, 5, v3
	v_mov_b32_e32 v16, v4
	v_add_co_u32_e64 v13, s[2:3], s26, v13
	v_lshlrev_b64 v[15:16], 2, v[15:16]
	v_addc_co_u32_e64 v14, s[2:3], v1, v14, s[2:3]
	v_add_u32_e32 v17, 6, v3
	v_mov_b32_e32 v18, v4
	v_add_co_u32_e64 v15, s[2:3], s26, v15
	v_lshlrev_b64 v[17:18], 2, v[17:18]
	v_addc_co_u32_e64 v16, s[2:3], v1, v16, s[2:3]
	v_add_u32_e32 v42, 7, v3
	v_mov_b32_e32 v43, v4
	v_add_co_u32_e64 v17, s[2:3], s26, v17
	v_lshlrev_b64 v[42:43], 2, v[42:43]
	v_addc_co_u32_e64 v18, s[2:3], v1, v18, s[2:3]
	v_add_u32_e32 v3, 8, v3
	v_add_co_u32_e64 v42, s[2:3], s26, v42
	v_lshlrev_b64 v[44:45], 2, v[3:4]
	v_addc_co_u32_e64 v43, s[2:3], v1, v43, s[2:3]
	v_add_co_u32_e64 v44, s[2:3], s26, v44
	v_addc_co_u32_e64 v45, s[2:3], v1, v45, s[2:3]
	ds_read_b32 v1, v35
	ds_read_b32 v3, v36
	ds_read_b32 v7, v37
	ds_read_b32 v19, v38
	ds_read_b32 v46, v39
	ds_read_b32 v47, v40
	ds_read_b32 v48, v25 offset:32
	s_waitcnt lgkmcnt(6)
	global_store_dword v[5:6], v1, off
	s_waitcnt lgkmcnt(5)
	global_store_dword v[9:10], v3, off
	;; [unrolled: 2-line block ×3, first 2 shown]
	global_store_dword v[13:14], v8, off
	s_waitcnt lgkmcnt(3)
	global_store_dword v[15:16], v19, off
	s_waitcnt lgkmcnt(2)
	;; [unrolled: 2-line block ×4, first 2 shown]
	global_store_dword v[44:45], v48, off
	s_branch .LBB2_10
.LBB2_39:
	s_endpgm
	.section	.rodata,"a",@progbits
	.p2align	6, 0x0
	.amdhsa_kernel _ZN9rocsparseL39bsrgeam_wf_per_row_multipass_2_3_kernelILj256ELj3ELj32EfEEv20rocsparse_direction_iiiNS_24const_host_device_scalarIT2_EEPKiS6_PKS3_S4_S6_S6_S8_S6_PiPS3_21rocsparse_index_base_SB_SB_b
		.amdhsa_group_segment_fixed_size 9472
		.amdhsa_private_segment_fixed_size 0
		.amdhsa_kernarg_size 120
		.amdhsa_user_sgpr_count 6
		.amdhsa_user_sgpr_private_segment_buffer 1
		.amdhsa_user_sgpr_dispatch_ptr 0
		.amdhsa_user_sgpr_queue_ptr 0
		.amdhsa_user_sgpr_kernarg_segment_ptr 1
		.amdhsa_user_sgpr_dispatch_id 0
		.amdhsa_user_sgpr_flat_scratch_init 0
		.amdhsa_user_sgpr_private_segment_size 0
		.amdhsa_uses_dynamic_stack 0
		.amdhsa_system_sgpr_private_segment_wavefront_offset 0
		.amdhsa_system_sgpr_workgroup_id_x 1
		.amdhsa_system_sgpr_workgroup_id_y 0
		.amdhsa_system_sgpr_workgroup_id_z 0
		.amdhsa_system_sgpr_workgroup_info 0
		.amdhsa_system_vgpr_workitem_id 0
		.amdhsa_next_free_vgpr 59
		.amdhsa_next_free_sgpr 93
		.amdhsa_reserve_vcc 1
		.amdhsa_reserve_flat_scratch 0
		.amdhsa_float_round_mode_32 0
		.amdhsa_float_round_mode_16_64 0
		.amdhsa_float_denorm_mode_32 3
		.amdhsa_float_denorm_mode_16_64 3
		.amdhsa_dx10_clamp 1
		.amdhsa_ieee_mode 1
		.amdhsa_fp16_overflow 0
		.amdhsa_exception_fp_ieee_invalid_op 0
		.amdhsa_exception_fp_denorm_src 0
		.amdhsa_exception_fp_ieee_div_zero 0
		.amdhsa_exception_fp_ieee_overflow 0
		.amdhsa_exception_fp_ieee_underflow 0
		.amdhsa_exception_fp_ieee_inexact 0
		.amdhsa_exception_int_div_zero 0
	.end_amdhsa_kernel
	.section	.text._ZN9rocsparseL39bsrgeam_wf_per_row_multipass_2_3_kernelILj256ELj3ELj32EfEEv20rocsparse_direction_iiiNS_24const_host_device_scalarIT2_EEPKiS6_PKS3_S4_S6_S6_S8_S6_PiPS3_21rocsparse_index_base_SB_SB_b,"axG",@progbits,_ZN9rocsparseL39bsrgeam_wf_per_row_multipass_2_3_kernelILj256ELj3ELj32EfEEv20rocsparse_direction_iiiNS_24const_host_device_scalarIT2_EEPKiS6_PKS3_S4_S6_S6_S8_S6_PiPS3_21rocsparse_index_base_SB_SB_b,comdat
.Lfunc_end2:
	.size	_ZN9rocsparseL39bsrgeam_wf_per_row_multipass_2_3_kernelILj256ELj3ELj32EfEEv20rocsparse_direction_iiiNS_24const_host_device_scalarIT2_EEPKiS6_PKS3_S4_S6_S6_S8_S6_PiPS3_21rocsparse_index_base_SB_SB_b, .Lfunc_end2-_ZN9rocsparseL39bsrgeam_wf_per_row_multipass_2_3_kernelILj256ELj3ELj32EfEEv20rocsparse_direction_iiiNS_24const_host_device_scalarIT2_EEPKiS6_PKS3_S4_S6_S6_S8_S6_PiPS3_21rocsparse_index_base_SB_SB_b
                                        ; -- End function
	.set _ZN9rocsparseL39bsrgeam_wf_per_row_multipass_2_3_kernelILj256ELj3ELj32EfEEv20rocsparse_direction_iiiNS_24const_host_device_scalarIT2_EEPKiS6_PKS3_S4_S6_S6_S8_S6_PiPS3_21rocsparse_index_base_SB_SB_b.num_vgpr, 59
	.set _ZN9rocsparseL39bsrgeam_wf_per_row_multipass_2_3_kernelILj256ELj3ELj32EfEEv20rocsparse_direction_iiiNS_24const_host_device_scalarIT2_EEPKiS6_PKS3_S4_S6_S6_S8_S6_PiPS3_21rocsparse_index_base_SB_SB_b.num_agpr, 0
	.set _ZN9rocsparseL39bsrgeam_wf_per_row_multipass_2_3_kernelILj256ELj3ELj32EfEEv20rocsparse_direction_iiiNS_24const_host_device_scalarIT2_EEPKiS6_PKS3_S4_S6_S6_S8_S6_PiPS3_21rocsparse_index_base_SB_SB_b.numbered_sgpr, 38
	.set _ZN9rocsparseL39bsrgeam_wf_per_row_multipass_2_3_kernelILj256ELj3ELj32EfEEv20rocsparse_direction_iiiNS_24const_host_device_scalarIT2_EEPKiS6_PKS3_S4_S6_S6_S8_S6_PiPS3_21rocsparse_index_base_SB_SB_b.num_named_barrier, 0
	.set _ZN9rocsparseL39bsrgeam_wf_per_row_multipass_2_3_kernelILj256ELj3ELj32EfEEv20rocsparse_direction_iiiNS_24const_host_device_scalarIT2_EEPKiS6_PKS3_S4_S6_S6_S8_S6_PiPS3_21rocsparse_index_base_SB_SB_b.private_seg_size, 0
	.set _ZN9rocsparseL39bsrgeam_wf_per_row_multipass_2_3_kernelILj256ELj3ELj32EfEEv20rocsparse_direction_iiiNS_24const_host_device_scalarIT2_EEPKiS6_PKS3_S4_S6_S6_S8_S6_PiPS3_21rocsparse_index_base_SB_SB_b.uses_vcc, 1
	.set _ZN9rocsparseL39bsrgeam_wf_per_row_multipass_2_3_kernelILj256ELj3ELj32EfEEv20rocsparse_direction_iiiNS_24const_host_device_scalarIT2_EEPKiS6_PKS3_S4_S6_S6_S8_S6_PiPS3_21rocsparse_index_base_SB_SB_b.uses_flat_scratch, 0
	.set _ZN9rocsparseL39bsrgeam_wf_per_row_multipass_2_3_kernelILj256ELj3ELj32EfEEv20rocsparse_direction_iiiNS_24const_host_device_scalarIT2_EEPKiS6_PKS3_S4_S6_S6_S8_S6_PiPS3_21rocsparse_index_base_SB_SB_b.has_dyn_sized_stack, 0
	.set _ZN9rocsparseL39bsrgeam_wf_per_row_multipass_2_3_kernelILj256ELj3ELj32EfEEv20rocsparse_direction_iiiNS_24const_host_device_scalarIT2_EEPKiS6_PKS3_S4_S6_S6_S8_S6_PiPS3_21rocsparse_index_base_SB_SB_b.has_recursion, 0
	.set _ZN9rocsparseL39bsrgeam_wf_per_row_multipass_2_3_kernelILj256ELj3ELj32EfEEv20rocsparse_direction_iiiNS_24const_host_device_scalarIT2_EEPKiS6_PKS3_S4_S6_S6_S8_S6_PiPS3_21rocsparse_index_base_SB_SB_b.has_indirect_call, 0
	.section	.AMDGPU.csdata,"",@progbits
; Kernel info:
; codeLenInByte = 3332
; TotalNumSgprs: 42
; NumVgprs: 59
; ScratchSize: 0
; MemoryBound: 0
; FloatMode: 240
; IeeeMode: 1
; LDSByteSize: 9472 bytes/workgroup (compile time only)
; SGPRBlocks: 12
; VGPRBlocks: 14
; NumSGPRsForWavesPerEU: 97
; NumVGPRsForWavesPerEU: 59
; Occupancy: 4
; WaveLimiterHint : 1
; COMPUTE_PGM_RSRC2:SCRATCH_EN: 0
; COMPUTE_PGM_RSRC2:USER_SGPR: 6
; COMPUTE_PGM_RSRC2:TRAP_HANDLER: 0
; COMPUTE_PGM_RSRC2:TGID_X_EN: 1
; COMPUTE_PGM_RSRC2:TGID_Y_EN: 0
; COMPUTE_PGM_RSRC2:TGID_Z_EN: 0
; COMPUTE_PGM_RSRC2:TIDIG_COMP_CNT: 0
	.section	.text._ZN9rocsparseL39bsrgeam_wf_per_row_multipass_2_3_kernelILj256ELj3ELj64EfEEv20rocsparse_direction_iiiNS_24const_host_device_scalarIT2_EEPKiS6_PKS3_S4_S6_S6_S8_S6_PiPS3_21rocsparse_index_base_SB_SB_b,"axG",@progbits,_ZN9rocsparseL39bsrgeam_wf_per_row_multipass_2_3_kernelILj256ELj3ELj64EfEEv20rocsparse_direction_iiiNS_24const_host_device_scalarIT2_EEPKiS6_PKS3_S4_S6_S6_S8_S6_PiPS3_21rocsparse_index_base_SB_SB_b,comdat
	.globl	_ZN9rocsparseL39bsrgeam_wf_per_row_multipass_2_3_kernelILj256ELj3ELj64EfEEv20rocsparse_direction_iiiNS_24const_host_device_scalarIT2_EEPKiS6_PKS3_S4_S6_S6_S8_S6_PiPS3_21rocsparse_index_base_SB_SB_b ; -- Begin function _ZN9rocsparseL39bsrgeam_wf_per_row_multipass_2_3_kernelILj256ELj3ELj64EfEEv20rocsparse_direction_iiiNS_24const_host_device_scalarIT2_EEPKiS6_PKS3_S4_S6_S6_S8_S6_PiPS3_21rocsparse_index_base_SB_SB_b
	.p2align	8
	.type	_ZN9rocsparseL39bsrgeam_wf_per_row_multipass_2_3_kernelILj256ELj3ELj64EfEEv20rocsparse_direction_iiiNS_24const_host_device_scalarIT2_EEPKiS6_PKS3_S4_S6_S6_S8_S6_PiPS3_21rocsparse_index_base_SB_SB_b,@function
_ZN9rocsparseL39bsrgeam_wf_per_row_multipass_2_3_kernelILj256ELj3ELj64EfEEv20rocsparse_direction_iiiNS_24const_host_device_scalarIT2_EEPKiS6_PKS3_S4_S6_S6_S8_S6_PiPS3_21rocsparse_index_base_SB_SB_b: ; @_ZN9rocsparseL39bsrgeam_wf_per_row_multipass_2_3_kernelILj256ELj3ELj64EfEEv20rocsparse_direction_iiiNS_24const_host_device_scalarIT2_EEPKiS6_PKS3_S4_S6_S6_S8_S6_PiPS3_21rocsparse_index_base_SB_SB_b
; %bb.0:
	s_load_dwordx4 s[8:11], s[4:5], 0x68
	s_load_dwordx2 s[28:29], s[4:5], 0x10
	s_load_dwordx2 s[30:31], s[4:5], 0x30
	s_waitcnt lgkmcnt(0)
	s_bitcmp1_b32 s11, 0
	s_cselect_b64 s[2:3], -1, 0
	s_xor_b64 s[0:1], s[2:3], -1
	s_and_b64 vcc, exec, s[2:3]
	s_cbranch_vccnz .LBB3_2
; %bb.1:
	s_load_dword s28, s[28:29], 0x0
.LBB3_2:
	s_andn2_b64 vcc, exec, s[0:1]
	s_cbranch_vccnz .LBB3_4
; %bb.3:
	s_load_dword s30, s[30:31], 0x0
.LBB3_4:
	s_nop 0
	s_load_dwordx4 s[12:15], s[4:5], 0x0
	s_lshl_b32 s0, s6, 2
	v_lshrrev_b32_e32 v8, 6, v0
	s_and_b32 s0, s0, 0x3fffffc
	v_or_b32_e32 v1, s0, v8
	s_waitcnt lgkmcnt(0)
	v_cmp_gt_i32_e32 vcc, s13, v1
	s_and_saveexec_b64 s[0:1], vcc
	s_cbranch_execz .LBB3_39
; %bb.5:
	s_load_dwordx4 s[16:19], s[4:5], 0x18
	s_load_dwordx4 s[20:23], s[4:5], 0x38
	s_load_dwordx2 s[0:1], s[4:5], 0x50
	v_lshlrev_b32_e32 v5, 2, v1
	s_waitcnt lgkmcnt(0)
	global_load_dwordx2 v[1:2], v5, s[16:17]
	global_load_dwordx2 v[3:4], v5, s[20:21]
	global_load_dword v9, v5, s[0:1]
	s_waitcnt vmcnt(2)
	v_subrev_u32_e32 v5, s8, v1
	v_cmp_lt_i32_e32 vcc, v1, v2
	v_mov_b32_e32 v1, s14
	s_and_saveexec_b64 s[0:1], vcc
	s_cbranch_execz .LBB3_7
; %bb.6:
	v_ashrrev_i32_e32 v6, 31, v5
	v_lshlrev_b64 v[6:7], 2, v[5:6]
	v_mov_b32_e32 v1, s19
	v_add_co_u32_e32 v6, vcc, s18, v6
	v_addc_co_u32_e32 v7, vcc, v1, v7, vcc
	global_load_dword v1, v[6:7], off
	s_waitcnt vmcnt(0)
	v_subrev_u32_e32 v1, s8, v1
.LBB3_7:
	s_or_b64 exec, exec, s[0:1]
	s_load_dwordx4 s[24:27], s[4:5], 0x58
	s_load_dwordx2 s[6:7], s[4:5], 0x28
	s_load_dwordx2 s[16:17], s[4:5], 0x48
	s_waitcnt vmcnt(1)
	v_subrev_u32_e32 v6, s9, v3
	v_cmp_lt_i32_e32 vcc, v3, v4
	v_mov_b32_e32 v3, s14
	s_and_saveexec_b64 s[0:1], vcc
	s_cbranch_execz .LBB3_9
; %bb.8:
	v_ashrrev_i32_e32 v7, 31, v6
	v_lshlrev_b64 v[10:11], 2, v[6:7]
	v_mov_b32_e32 v3, s23
	v_add_co_u32_e32 v10, vcc, s22, v10
	v_addc_co_u32_e32 v11, vcc, v3, v11, vcc
	global_load_dword v3, v[10:11], off
	s_waitcnt vmcnt(0)
	v_subrev_u32_e32 v3, s9, v3
.LBB3_9:
	s_or_b64 exec, exec, s[0:1]
	v_and_b32_e32 v7, 0xc0, v0
	v_or_b32_e32 v22, 0x2400, v7
	v_and_b32_e32 v7, 63, v0
	s_movk_i32 s0, 0x900
	v_min_i32_e32 v44, v3, v1
	v_mul_u32_u24_e32 v1, 36, v7
	v_mad_u32_u24 v27, v8, s0, v1
	v_mbcnt_lo_u32_b32 v1, -1, 0
	v_mbcnt_hi_u32_b32 v1, -1, v1
	v_and_b32_e32 v3, 64, v1
	v_mul_u32_u24_e32 v23, 0x900, v8
	v_add_u32_e32 v3, 64, v3
	v_xor_b32_e32 v8, 32, v1
	v_cmp_lt_i32_e32 vcc, v8, v3
	v_cndmask_b32_e32 v8, v1, v8, vcc
	v_lshlrev_b32_e32 v29, 2, v8
	v_xor_b32_e32 v8, 16, v1
	v_cmp_lt_i32_e32 vcc, v8, v3
	v_cndmask_b32_e32 v8, v1, v8, vcc
	v_lshlrev_b32_e32 v30, 2, v8
	;; [unrolled: 4-line block ×5, first 2 shown]
	v_xor_b32_e32 v8, 1, v1
	s_cmp_lg_u32 s12, 0
	v_cmp_lt_i32_e32 vcc, v8, v3
	v_add_u32_e32 v0, v5, v7
	s_cselect_b64 s[0:1], -1, 0
	s_cmp_eq_u32 s12, 0
	v_xor_b32_e32 v5, 63, v7
	v_cndmask_b32_e32 v1, v1, v8, vcc
	v_subrev_u32_e32 v24, s8, v2
	v_add_u32_e32 v2, v6, v7
	v_lshrrev_b64 v[5:6], v5, -1
	v_lshlrev_b32_e32 v34, 2, v1
	s_cselect_b32 s2, 4, 12
	s_cselect_b32 s3, 8, 24
	;; [unrolled: 1-line block ×6, first 2 shown]
	v_cndmask_b32_e64 v1, 0, 1, s[0:1]
	v_subrev_u32_e32 v25, s9, v4
	s_waitcnt vmcnt(0)
	v_subrev_u32_e32 v26, s10, v9
	v_mov_b32_e32 v4, 0
	v_add_u32_e32 v28, s10, v7
	s_mov_b64 s[10:11], 0
	v_add_u32_e32 v35, v22, v7
	v_mov_b32_e32 v36, 1
	v_cmp_ne_u32_e64 s[0:1], 1, v1
	v_add_u32_e32 v37, s2, v27
	v_add_u32_e32 v38, s3, v27
	;; [unrolled: 1-line block ×6, first 2 shown]
	s_branch .LBB3_11
.LBB3_10:                               ;   in Loop: Header=BB3_11 Depth=1
	s_or_b64 exec, exec, s[4:5]
	ds_bpermute_b32 v1, v29, v43
	s_bcnt1_i32_b64 s2, vcc
	v_add_u32_e32 v26, s2, v26
	s_waitcnt lgkmcnt(0)
	v_min_i32_e32 v1, v1, v43
	ds_bpermute_b32 v3, v30, v1
	s_waitcnt lgkmcnt(0)
	v_min_i32_e32 v1, v3, v1
	ds_bpermute_b32 v3, v31, v1
	;; [unrolled: 3-line block ×5, first 2 shown]
	s_waitcnt lgkmcnt(0)
	v_min_i32_e32 v44, v3, v1
	v_cmp_le_i32_e32 vcc, s14, v44
	s_or_b64 s[10:11], vcc, s[10:11]
	s_andn2_b64 exec, exec, s[10:11]
	s_cbranch_execz .LBB3_39
.LBB3_11:                               ; =>This Loop Header: Depth=1
                                        ;     Child Loop BB3_14 Depth 2
                                        ;     Child Loop BB3_27 Depth 2
	v_cmp_lt_i32_e32 vcc, v0, v24
	v_mov_b32_e32 v43, s14
	ds_write_b8 v35, v4
	ds_write2_b32 v27, v4, v4 offset1:1
	ds_write2_b32 v27, v4, v4 offset0:2 offset1:3
	ds_write2_b32 v27, v4, v4 offset0:4 offset1:5
	;; [unrolled: 1-line block ×3, first 2 shown]
	ds_write_b32 v27, v4 offset:32
	s_waitcnt lgkmcnt(0)
	s_and_saveexec_b64 s[12:13], vcc
	s_cbranch_execz .LBB3_24
; %bb.12:                               ;   in Loop: Header=BB3_11 Depth=1
	v_mad_u64_u32 v[7:8], s[2:3], v0, 9, 8
	s_mov_b64 s[20:21], 0
	v_mov_b32_e32 v43, s14
	s_branch .LBB3_14
.LBB3_13:                               ;   in Loop: Header=BB3_14 Depth=2
	s_or_b64 exec, exec, s[34:35]
	s_and_b64 s[2:3], exec, s[4:5]
	s_or_b64 s[20:21], s[2:3], s[20:21]
	s_andn2_b64 exec, exec, s[20:21]
	s_cbranch_execz .LBB3_23
.LBB3_14:                               ;   Parent Loop BB3_11 Depth=1
                                        ; =>  This Inner Loop Header: Depth=2
	v_ashrrev_i32_e32 v1, 31, v0
	v_lshlrev_b64 v[8:9], 2, v[0:1]
	v_mov_b32_e32 v1, s19
	v_add_co_u32_e32 v8, vcc, s18, v8
	v_addc_co_u32_e32 v9, vcc, v1, v9, vcc
	global_load_dword v1, v[8:9], off
	s_waitcnt vmcnt(0)
	v_subrev_u32_e32 v3, s8, v1
	v_sub_u32_e32 v1, v3, v44
	v_cmp_gt_u32_e64 s[2:3], 64, v1
	v_cmp_lt_u32_e32 vcc, 63, v1
	s_and_saveexec_b64 s[4:5], vcc
	s_xor_b64 s[4:5], exec, s[4:5]
; %bb.15:                               ;   in Loop: Header=BB3_14 Depth=2
	v_min_i32_e32 v43, v3, v43
                                        ; implicit-def: $vgpr1
; %bb.16:                               ;   in Loop: Header=BB3_14 Depth=2
	s_andn2_saveexec_b64 s[34:35], s[4:5]
	s_cbranch_execz .LBB3_21
; %bb.17:                               ;   in Loop: Header=BB3_14 Depth=2
	v_add_u32_e32 v3, -8, v7
	v_lshlrev_b64 v[8:9], 2, v[3:4]
	v_mov_b32_e32 v3, s7
	v_add_co_u32_e32 v8, vcc, s6, v8
	v_addc_co_u32_e32 v9, vcc, v3, v9, vcc
	global_load_dword v8, v[8:9], off
	v_add_u32_e32 v3, v22, v1
	v_mul_lo_u32 v1, v1, 36
	ds_write_b8 v3, v36
	v_add_u32_e32 v3, -4, v7
	v_lshlrev_b64 v[9:10], 2, v[3:4]
	v_mov_b32_e32 v12, s7
	v_add_co_u32_e64 v9, s[4:5], s6, v9
	s_mov_b64 s[36:37], -1
	s_and_b64 vcc, exec, s[0:1]
	v_add_u32_e32 v13, -2, v7
	v_add_u32_e32 v19, -7, v7
	;; [unrolled: 1-line block ×5, first 2 shown]
	v_add_u32_e32 v1, v23, v1
	v_addc_co_u32_e64 v10, s[4:5], v12, v10, s[4:5]
	v_add_u32_e32 v15, -3, v7
	s_waitcnt vmcnt(0)
	v_mul_f32_e32 v8, s28, v8
	ds_write_b32 v1, v8
	s_cbranch_vccnz .LBB3_19
; %bb.18:                               ;   in Loop: Header=BB3_14 Depth=2
	v_lshlrev_b64 v[20:21], 2, v[3:4]
	v_mov_b32_e32 v8, s7
	v_add_co_u32_e32 v45, vcc, s6, v20
	v_mov_b32_e32 v14, v4
	v_addc_co_u32_e32 v46, vcc, v8, v21, vcc
	v_lshlrev_b64 v[20:21], 2, v[13:14]
	v_mov_b32_e32 v12, v4
	v_add_co_u32_e32 v47, vcc, s6, v20
	v_mov_b32_e32 v20, v4
	v_addc_co_u32_e32 v48, vcc, v8, v21, vcc
	v_lshlrev_b64 v[20:21], 2, v[19:20]
	v_lshlrev_b64 v[49:50], 2, v[11:12]
	v_add_co_u32_e32 v20, vcc, s6, v20
	v_addc_co_u32_e32 v21, vcc, v8, v21, vcc
	v_mov_b32_e32 v18, v4
	v_add_co_u32_e32 v49, vcc, s6, v49
	v_lshlrev_b64 v[51:52], 2, v[17:18]
	v_addc_co_u32_e32 v50, vcc, v8, v50, vcc
	v_mov_b32_e32 v16, v4
	v_add_co_u32_e32 v51, vcc, s6, v51
	v_lshlrev_b64 v[53:54], 2, v[15:16]
	v_addc_co_u32_e32 v52, vcc, v8, v52, vcc
	v_add_co_u32_e32 v53, vcc, s6, v53
	v_addc_co_u32_e32 v54, vcc, v8, v54, vcc
	v_mov_b32_e32 v8, v4
	v_lshlrev_b64 v[55:56], 2, v[7:8]
	v_mov_b32_e32 v8, s7
	v_add_co_u32_e32 v55, vcc, s6, v55
	v_addc_co_u32_e32 v56, vcc, v8, v56, vcc
	global_load_dword v8, v[9:10], off
	global_load_dword v12, v[45:46], off
	;; [unrolled: 1-line block ×8, first 2 shown]
	s_mov_b64 s[36:37], 0
	s_waitcnt vmcnt(7)
	v_mul_f32_e32 v8, s28, v8
	s_waitcnt vmcnt(6)
	v_mul_f32_e32 v12, s28, v12
	;; [unrolled: 2-line block ×8, first 2 shown]
	ds_write2_b32 v1, v12, v14 offset0:1 offset1:2
	ds_write2_b32 v1, v16, v8 offset0:3 offset1:4
	;; [unrolled: 1-line block ×4, first 2 shown]
.LBB3_19:                               ;   in Loop: Header=BB3_14 Depth=2
	s_andn2_b64 vcc, exec, s[36:37]
	s_cbranch_vccnz .LBB3_21
; %bb.20:                               ;   in Loop: Header=BB3_14 Depth=2
	v_mov_b32_e32 v20, v4
	v_lshlrev_b64 v[18:19], 2, v[19:20]
	v_mov_b32_e32 v8, s7
	v_add_co_u32_e32 v20, vcc, s6, v18
	v_mov_b32_e32 v18, v4
	v_lshlrev_b64 v[16:17], 2, v[17:18]
	v_addc_co_u32_e32 v21, vcc, v8, v19, vcc
	v_add_co_u32_e32 v18, vcc, s6, v16
	v_addc_co_u32_e32 v19, vcc, v8, v17, vcc
	v_lshlrev_b64 v[16:17], 2, v[3:4]
	v_mov_b32_e32 v3, s7
	v_add_co_u32_e32 v45, vcc, s6, v16
	v_mov_b32_e32 v16, v4
	v_lshlrev_b64 v[14:15], 2, v[15:16]
	v_addc_co_u32_e32 v46, vcc, v3, v17, vcc
	v_add_co_u32_e32 v16, vcc, s6, v14
	v_mov_b32_e32 v14, v4
	v_lshlrev_b64 v[12:13], 2, v[13:14]
	v_addc_co_u32_e32 v17, vcc, v3, v15, vcc
	;; [unrolled: 4-line block ×3, first 2 shown]
	v_mov_b32_e32 v8, v4
	v_add_co_u32_e32 v11, vcc, s6, v11
	v_lshlrev_b64 v[47:48], 2, v[7:8]
	v_addc_co_u32_e32 v12, vcc, v3, v12, vcc
	v_add_co_u32_e32 v47, vcc, s6, v47
	v_addc_co_u32_e32 v48, vcc, v3, v48, vcc
	global_load_dword v3, v[20:21], off
	global_load_dword v8, v[18:19], off
	;; [unrolled: 1-line block ×8, first 2 shown]
	s_waitcnt vmcnt(7)
	v_mul_f32_e32 v3, s28, v3
	s_waitcnt vmcnt(6)
	v_mul_f32_e32 v8, s28, v8
	;; [unrolled: 2-line block ×8, first 2 shown]
	ds_write2_b32 v1, v3, v8 offset0:1 offset1:2
	ds_write2_b32 v1, v9, v10 offset0:3 offset1:4
	;; [unrolled: 1-line block ×4, first 2 shown]
.LBB3_21:                               ;   in Loop: Header=BB3_14 Depth=2
	s_or_b64 exec, exec, s[34:35]
	s_mov_b64 s[4:5], -1
	s_and_saveexec_b64 s[34:35], s[2:3]
	s_cbranch_execz .LBB3_13
; %bb.22:                               ;   in Loop: Header=BB3_14 Depth=2
	v_add_u32_e32 v0, 64, v0
	v_cmp_ge_i32_e32 vcc, v0, v24
	v_add_u32_e32 v7, 0x240, v7
	s_orn2_b64 s[4:5], vcc, exec
	s_branch .LBB3_13
.LBB3_23:                               ;   in Loop: Header=BB3_11 Depth=1
	s_or_b64 exec, exec, s[20:21]
.LBB3_24:                               ;   in Loop: Header=BB3_11 Depth=1
	s_or_b64 exec, exec, s[12:13]
	v_cmp_lt_i32_e32 vcc, v2, v25
	s_waitcnt lgkmcnt(0)
	s_and_saveexec_b64 s[12:13], vcc
	s_cbranch_execz .LBB3_37
; %bb.25:                               ;   in Loop: Header=BB3_11 Depth=1
	v_mad_u64_u32 v[7:8], s[2:3], v2, 9, 8
	s_mov_b64 s[20:21], 0
	s_branch .LBB3_27
.LBB3_26:                               ;   in Loop: Header=BB3_27 Depth=2
	s_or_b64 exec, exec, s[34:35]
	s_and_b64 s[2:3], exec, s[4:5]
	s_or_b64 s[20:21], s[2:3], s[20:21]
	s_andn2_b64 exec, exec, s[20:21]
	s_cbranch_execz .LBB3_36
.LBB3_27:                               ;   Parent Loop BB3_11 Depth=1
                                        ; =>  This Inner Loop Header: Depth=2
	v_ashrrev_i32_e32 v3, 31, v2
	v_lshlrev_b64 v[8:9], 2, v[2:3]
	v_mov_b32_e32 v1, s23
	v_add_co_u32_e32 v8, vcc, s22, v8
	v_addc_co_u32_e32 v9, vcc, v1, v9, vcc
	global_load_dword v1, v[8:9], off
	s_waitcnt vmcnt(0)
	v_subrev_u32_e32 v3, s9, v1
	v_sub_u32_e32 v1, v3, v44
	v_cmp_gt_u32_e64 s[2:3], 64, v1
	v_cmp_lt_u32_e32 vcc, 63, v1
	s_and_saveexec_b64 s[4:5], vcc
	s_xor_b64 s[4:5], exec, s[4:5]
; %bb.28:                               ;   in Loop: Header=BB3_27 Depth=2
	v_min_i32_e32 v43, v3, v43
                                        ; implicit-def: $vgpr1
; %bb.29:                               ;   in Loop: Header=BB3_27 Depth=2
	s_andn2_saveexec_b64 s[34:35], s[4:5]
	s_cbranch_execz .LBB3_34
; %bb.30:                               ;   in Loop: Header=BB3_27 Depth=2
	v_add_u32_e32 v3, -8, v7
	v_lshlrev_b64 v[8:9], 2, v[3:4]
	v_mov_b32_e32 v3, s17
	v_add_co_u32_e32 v8, vcc, s16, v8
	v_addc_co_u32_e32 v9, vcc, v3, v9, vcc
	global_load_dword v11, v[8:9], off
	v_add_u32_e32 v3, v22, v1
	v_mul_lo_u32 v1, v1, 36
	ds_write_b8 v3, v36
	v_add_u32_e32 v3, -4, v7
	v_lshlrev_b64 v[13:14], 2, v[3:4]
	v_add_u32_e32 v1, v23, v1
	ds_read2_b32 v[8:9], v1 offset1:1
	v_mov_b32_e32 v15, s17
	v_add_co_u32_e64 v16, s[4:5], s16, v13
	s_mov_b64 s[36:37], -1
	s_and_b64 vcc, exec, s[0:1]
	v_add_u32_e32 v12, -2, v7
	v_add_u32_e32 v20, -7, v7
	;; [unrolled: 1-line block ×5, first 2 shown]
	v_addc_co_u32_e64 v17, s[4:5], v15, v14, s[4:5]
	v_add_u32_e32 v14, -3, v7
	s_waitcnt vmcnt(0) lgkmcnt(0)
	v_fma_f32 v8, s30, v11, v8
	ds_write_b32 v1, v8
	s_cbranch_vccnz .LBB3_32
; %bb.31:                               ;   in Loop: Header=BB3_27 Depth=2
	v_lshlrev_b64 v[45:46], 2, v[3:4]
	v_mov_b32_e32 v13, v4
	v_mov_b32_e32 v8, s17
	v_add_co_u32_e32 v45, vcc, s16, v45
	v_lshlrev_b64 v[47:48], 2, v[12:13]
	v_addc_co_u32_e32 v46, vcc, v8, v46, vcc
	v_mov_b32_e32 v21, v4
	v_add_co_u32_e32 v47, vcc, s16, v47
	v_lshlrev_b64 v[49:50], 2, v[20:21]
	v_addc_co_u32_e32 v48, vcc, v8, v48, vcc
	;; [unrolled: 4-line block ×5, first 2 shown]
	v_add_co_u32_e32 v55, vcc, s16, v55
	v_addc_co_u32_e32 v56, vcc, v8, v56, vcc
	v_mov_b32_e32 v8, v4
	v_lshlrev_b64 v[57:58], 2, v[7:8]
	v_mov_b32_e32 v8, s17
	v_add_co_u32_e32 v57, vcc, s16, v57
	global_load_dword v13, v[16:17], off
	v_addc_co_u32_e32 v58, vcc, v8, v58, vcc
	global_load_dword v8, v[45:46], off
	global_load_dword v11, v[47:48], off
	;; [unrolled: 1-line block ×7, first 2 shown]
	ds_read2_b32 v[45:46], v1 offset0:4 offset1:5
	ds_read2_b32 v[47:48], v1 offset0:2 offset1:3
	;; [unrolled: 1-line block ×3, first 2 shown]
	ds_read_b32 v51, v1 offset:32
	s_mov_b64 s[36:37], 0
	s_waitcnt vmcnt(6)
	v_fma_f32 v8, s30, v8, v9
	s_waitcnt vmcnt(5) lgkmcnt(2)
	v_fma_f32 v11, s30, v11, v47
	s_waitcnt vmcnt(4)
	v_fmac_f32_e32 v48, s30, v15
	v_fma_f32 v13, s30, v13, v45
	s_waitcnt vmcnt(3)
	v_fmac_f32_e32 v46, s30, v19
	s_waitcnt vmcnt(2) lgkmcnt(1)
	v_fma_f32 v15, s30, v21, v49
	s_waitcnt vmcnt(1)
	v_fmac_f32_e32 v50, s30, v59
	s_waitcnt vmcnt(0) lgkmcnt(0)
	v_fmac_f32_e32 v51, s30, v60
	ds_write2_b32 v1, v8, v11 offset0:1 offset1:2
	ds_write2_b32 v1, v48, v13 offset0:3 offset1:4
	;; [unrolled: 1-line block ×4, first 2 shown]
.LBB3_32:                               ;   in Loop: Header=BB3_27 Depth=2
	s_andn2_b64 vcc, exec, s[36:37]
	s_cbranch_vccnz .LBB3_34
; %bb.33:                               ;   in Loop: Header=BB3_27 Depth=2
	v_mov_b32_e32 v21, v4
	v_lshlrev_b64 v[19:20], 2, v[20:21]
	v_mov_b32_e32 v8, s17
	v_add_co_u32_e32 v45, vcc, s16, v19
	v_mov_b32_e32 v19, v4
	v_lshlrev_b64 v[18:19], 2, v[18:19]
	v_addc_co_u32_e32 v46, vcc, v8, v20, vcc
	v_add_co_u32_e32 v18, vcc, s16, v18
	v_lshlrev_b64 v[20:21], 2, v[3:4]
	v_addc_co_u32_e32 v19, vcc, v8, v19, vcc
	v_mov_b32_e32 v15, v4
	v_mov_b32_e32 v3, s17
	v_add_co_u32_e32 v20, vcc, s16, v20
	v_lshlrev_b64 v[13:14], 2, v[14:15]
	v_addc_co_u32_e32 v21, vcc, v3, v21, vcc
	v_add_co_u32_e32 v15, vcc, s16, v13
	v_mov_b32_e32 v13, v4
	v_lshlrev_b64 v[11:12], 2, v[12:13]
	global_load_dword v3, v[16:17], off
	v_addc_co_u32_e32 v16, vcc, v8, v14, vcc
	v_add_co_u32_e32 v13, vcc, s16, v11
	v_mov_b32_e32 v11, v4
	v_lshlrev_b64 v[10:11], 2, v[10:11]
	v_addc_co_u32_e32 v14, vcc, v8, v12, vcc
	v_add_co_u32_e32 v10, vcc, s16, v10
	v_addc_co_u32_e32 v11, vcc, v8, v11, vcc
	v_mov_b32_e32 v8, v4
	v_lshlrev_b64 v[47:48], 2, v[7:8]
	v_mov_b32_e32 v8, s17
	v_add_co_u32_e32 v47, vcc, s16, v47
	v_addc_co_u32_e32 v48, vcc, v8, v48, vcc
	global_load_dword v8, v[45:46], off
	global_load_dword v17, v[18:19], off
	;; [unrolled: 1-line block ×7, first 2 shown]
	ds_read2_b32 v[10:11], v1 offset0:4 offset1:5
	ds_read2_b32 v[12:13], v1 offset0:2 offset1:3
	;; [unrolled: 1-line block ×3, first 2 shown]
	ds_read_b32 v16, v1 offset:32
	s_waitcnt vmcnt(7) lgkmcnt(3)
	v_fma_f32 v3, s30, v3, v10
	s_waitcnt vmcnt(6)
	v_fmac_f32_e32 v9, s30, v8
	s_waitcnt vmcnt(5) lgkmcnt(2)
	v_fma_f32 v8, s30, v17, v12
	s_waitcnt vmcnt(4)
	v_fmac_f32_e32 v13, s30, v49
	s_waitcnt vmcnt(3)
	v_fmac_f32_e32 v11, s30, v50
	s_waitcnt vmcnt(2) lgkmcnt(1)
	v_fma_f32 v10, s30, v51, v14
	s_waitcnt vmcnt(1)
	v_fmac_f32_e32 v15, s30, v52
	s_waitcnt vmcnt(0) lgkmcnt(0)
	v_fmac_f32_e32 v16, s30, v53
	ds_write2_b32 v1, v9, v8 offset0:1 offset1:2
	ds_write2_b32 v1, v13, v3 offset0:3 offset1:4
	;; [unrolled: 1-line block ×4, first 2 shown]
.LBB3_34:                               ;   in Loop: Header=BB3_27 Depth=2
	s_or_b64 exec, exec, s[34:35]
	s_mov_b64 s[4:5], -1
	s_and_saveexec_b64 s[34:35], s[2:3]
	s_cbranch_execz .LBB3_26
; %bb.35:                               ;   in Loop: Header=BB3_27 Depth=2
	v_add_u32_e32 v2, 64, v2
	v_cmp_ge_i32_e32 vcc, v2, v25
	v_add_u32_e32 v7, 0x240, v7
	s_orn2_b64 s[4:5], vcc, exec
	s_branch .LBB3_26
.LBB3_36:                               ;   in Loop: Header=BB3_11 Depth=1
	s_or_b64 exec, exec, s[20:21]
.LBB3_37:                               ;   in Loop: Header=BB3_11 Depth=1
	s_or_b64 exec, exec, s[12:13]
	s_waitcnt lgkmcnt(0)
	ds_read_u8 v1, v35
	s_waitcnt lgkmcnt(0)
	v_and_b32_e32 v3, 1, v1
	v_cmp_eq_u32_e64 s[2:3], 1, v3
	v_cmp_ne_u16_e32 vcc, 0, v1
	s_and_saveexec_b64 s[4:5], s[2:3]
	s_cbranch_execz .LBB3_10
; %bb.38:                               ;   in Loop: Header=BB3_11 Depth=1
	v_and_b32_e32 v3, vcc_lo, v5
	v_and_b32_e32 v1, vcc_hi, v6
	v_bcnt_u32_b32 v3, v3, 0
	v_bcnt_u32_b32 v1, v1, v3
	v_add3_u32 v7, v26, v1, -1
	v_ashrrev_i32_e32 v8, 31, v7
	v_lshlrev_b64 v[8:9], 2, v[7:8]
	v_mov_b32_e32 v1, s25
	v_add_co_u32_e64 v8, s[2:3], s24, v8
	v_add_u32_e32 v3, v28, v44
	v_addc_co_u32_e64 v9, s[2:3], v1, v9, s[2:3]
	global_store_dword v[8:9], v3, off
	v_lshl_add_u32 v3, v7, 3, v7
	ds_read2_b32 v[9:10], v27 offset1:4
	v_lshlrev_b64 v[7:8], 2, v[3:4]
	v_mov_b32_e32 v1, s27
	v_add_co_u32_e64 v7, s[2:3], s26, v7
	v_addc_co_u32_e64 v8, s[2:3], v1, v8, s[2:3]
	s_waitcnt lgkmcnt(0)
	global_store_dword v[7:8], v9, off
	v_add_u32_e32 v7, 1, v3
	v_mov_b32_e32 v8, v4
	v_lshlrev_b64 v[7:8], 2, v[7:8]
	v_add_u32_e32 v11, 2, v3
	v_mov_b32_e32 v12, v4
	v_add_co_u32_e64 v7, s[2:3], s26, v7
	v_lshlrev_b64 v[11:12], 2, v[11:12]
	v_addc_co_u32_e64 v8, s[2:3], v1, v8, s[2:3]
	v_add_u32_e32 v13, 3, v3
	v_mov_b32_e32 v14, v4
	v_add_co_u32_e64 v11, s[2:3], s26, v11
	v_lshlrev_b64 v[13:14], 2, v[13:14]
	v_addc_co_u32_e64 v12, s[2:3], v1, v12, s[2:3]
	;; [unrolled: 5-line block ×6, first 2 shown]
	v_add_u32_e32 v3, 8, v3
	v_add_co_u32_e64 v44, s[2:3], s26, v44
	v_lshlrev_b64 v[46:47], 2, v[3:4]
	v_addc_co_u32_e64 v45, s[2:3], v1, v45, s[2:3]
	v_add_co_u32_e64 v46, s[2:3], s26, v46
	v_addc_co_u32_e64 v47, s[2:3], v1, v47, s[2:3]
	ds_read_b32 v1, v37
	ds_read_b32 v3, v38
	;; [unrolled: 1-line block ×6, first 2 shown]
	ds_read_b32 v50, v27 offset:32
	s_waitcnt lgkmcnt(6)
	global_store_dword v[7:8], v1, off
	s_waitcnt lgkmcnt(5)
	global_store_dword v[11:12], v3, off
	s_waitcnt lgkmcnt(4)
	global_store_dword v[13:14], v9, off
	global_store_dword v[15:16], v10, off
	s_waitcnt lgkmcnt(3)
	global_store_dword v[17:18], v21, off
	s_waitcnt lgkmcnt(2)
	;; [unrolled: 2-line block ×4, first 2 shown]
	global_store_dword v[46:47], v50, off
	s_branch .LBB3_10
.LBB3_39:
	s_endpgm
	.section	.rodata,"a",@progbits
	.p2align	6, 0x0
	.amdhsa_kernel _ZN9rocsparseL39bsrgeam_wf_per_row_multipass_2_3_kernelILj256ELj3ELj64EfEEv20rocsparse_direction_iiiNS_24const_host_device_scalarIT2_EEPKiS6_PKS3_S4_S6_S6_S8_S6_PiPS3_21rocsparse_index_base_SB_SB_b
		.amdhsa_group_segment_fixed_size 9472
		.amdhsa_private_segment_fixed_size 0
		.amdhsa_kernarg_size 120
		.amdhsa_user_sgpr_count 6
		.amdhsa_user_sgpr_private_segment_buffer 1
		.amdhsa_user_sgpr_dispatch_ptr 0
		.amdhsa_user_sgpr_queue_ptr 0
		.amdhsa_user_sgpr_kernarg_segment_ptr 1
		.amdhsa_user_sgpr_dispatch_id 0
		.amdhsa_user_sgpr_flat_scratch_init 0
		.amdhsa_user_sgpr_private_segment_size 0
		.amdhsa_uses_dynamic_stack 0
		.amdhsa_system_sgpr_private_segment_wavefront_offset 0
		.amdhsa_system_sgpr_workgroup_id_x 1
		.amdhsa_system_sgpr_workgroup_id_y 0
		.amdhsa_system_sgpr_workgroup_id_z 0
		.amdhsa_system_sgpr_workgroup_info 0
		.amdhsa_system_vgpr_workitem_id 0
		.amdhsa_next_free_vgpr 61
		.amdhsa_next_free_sgpr 93
		.amdhsa_reserve_vcc 1
		.amdhsa_reserve_flat_scratch 0
		.amdhsa_float_round_mode_32 0
		.amdhsa_float_round_mode_16_64 0
		.amdhsa_float_denorm_mode_32 3
		.amdhsa_float_denorm_mode_16_64 3
		.amdhsa_dx10_clamp 1
		.amdhsa_ieee_mode 1
		.amdhsa_fp16_overflow 0
		.amdhsa_exception_fp_ieee_invalid_op 0
		.amdhsa_exception_fp_denorm_src 0
		.amdhsa_exception_fp_ieee_div_zero 0
		.amdhsa_exception_fp_ieee_overflow 0
		.amdhsa_exception_fp_ieee_underflow 0
		.amdhsa_exception_fp_ieee_inexact 0
		.amdhsa_exception_int_div_zero 0
	.end_amdhsa_kernel
	.section	.text._ZN9rocsparseL39bsrgeam_wf_per_row_multipass_2_3_kernelILj256ELj3ELj64EfEEv20rocsparse_direction_iiiNS_24const_host_device_scalarIT2_EEPKiS6_PKS3_S4_S6_S6_S8_S6_PiPS3_21rocsparse_index_base_SB_SB_b,"axG",@progbits,_ZN9rocsparseL39bsrgeam_wf_per_row_multipass_2_3_kernelILj256ELj3ELj64EfEEv20rocsparse_direction_iiiNS_24const_host_device_scalarIT2_EEPKiS6_PKS3_S4_S6_S6_S8_S6_PiPS3_21rocsparse_index_base_SB_SB_b,comdat
.Lfunc_end3:
	.size	_ZN9rocsparseL39bsrgeam_wf_per_row_multipass_2_3_kernelILj256ELj3ELj64EfEEv20rocsparse_direction_iiiNS_24const_host_device_scalarIT2_EEPKiS6_PKS3_S4_S6_S6_S8_S6_PiPS3_21rocsparse_index_base_SB_SB_b, .Lfunc_end3-_ZN9rocsparseL39bsrgeam_wf_per_row_multipass_2_3_kernelILj256ELj3ELj64EfEEv20rocsparse_direction_iiiNS_24const_host_device_scalarIT2_EEPKiS6_PKS3_S4_S6_S6_S8_S6_PiPS3_21rocsparse_index_base_SB_SB_b
                                        ; -- End function
	.set _ZN9rocsparseL39bsrgeam_wf_per_row_multipass_2_3_kernelILj256ELj3ELj64EfEEv20rocsparse_direction_iiiNS_24const_host_device_scalarIT2_EEPKiS6_PKS3_S4_S6_S6_S8_S6_PiPS3_21rocsparse_index_base_SB_SB_b.num_vgpr, 61
	.set _ZN9rocsparseL39bsrgeam_wf_per_row_multipass_2_3_kernelILj256ELj3ELj64EfEEv20rocsparse_direction_iiiNS_24const_host_device_scalarIT2_EEPKiS6_PKS3_S4_S6_S6_S8_S6_PiPS3_21rocsparse_index_base_SB_SB_b.num_agpr, 0
	.set _ZN9rocsparseL39bsrgeam_wf_per_row_multipass_2_3_kernelILj256ELj3ELj64EfEEv20rocsparse_direction_iiiNS_24const_host_device_scalarIT2_EEPKiS6_PKS3_S4_S6_S6_S8_S6_PiPS3_21rocsparse_index_base_SB_SB_b.numbered_sgpr, 38
	.set _ZN9rocsparseL39bsrgeam_wf_per_row_multipass_2_3_kernelILj256ELj3ELj64EfEEv20rocsparse_direction_iiiNS_24const_host_device_scalarIT2_EEPKiS6_PKS3_S4_S6_S6_S8_S6_PiPS3_21rocsparse_index_base_SB_SB_b.num_named_barrier, 0
	.set _ZN9rocsparseL39bsrgeam_wf_per_row_multipass_2_3_kernelILj256ELj3ELj64EfEEv20rocsparse_direction_iiiNS_24const_host_device_scalarIT2_EEPKiS6_PKS3_S4_S6_S6_S8_S6_PiPS3_21rocsparse_index_base_SB_SB_b.private_seg_size, 0
	.set _ZN9rocsparseL39bsrgeam_wf_per_row_multipass_2_3_kernelILj256ELj3ELj64EfEEv20rocsparse_direction_iiiNS_24const_host_device_scalarIT2_EEPKiS6_PKS3_S4_S6_S6_S8_S6_PiPS3_21rocsparse_index_base_SB_SB_b.uses_vcc, 1
	.set _ZN9rocsparseL39bsrgeam_wf_per_row_multipass_2_3_kernelILj256ELj3ELj64EfEEv20rocsparse_direction_iiiNS_24const_host_device_scalarIT2_EEPKiS6_PKS3_S4_S6_S6_S8_S6_PiPS3_21rocsparse_index_base_SB_SB_b.uses_flat_scratch, 0
	.set _ZN9rocsparseL39bsrgeam_wf_per_row_multipass_2_3_kernelILj256ELj3ELj64EfEEv20rocsparse_direction_iiiNS_24const_host_device_scalarIT2_EEPKiS6_PKS3_S4_S6_S6_S8_S6_PiPS3_21rocsparse_index_base_SB_SB_b.has_dyn_sized_stack, 0
	.set _ZN9rocsparseL39bsrgeam_wf_per_row_multipass_2_3_kernelILj256ELj3ELj64EfEEv20rocsparse_direction_iiiNS_24const_host_device_scalarIT2_EEPKiS6_PKS3_S4_S6_S6_S8_S6_PiPS3_21rocsparse_index_base_SB_SB_b.has_recursion, 0
	.set _ZN9rocsparseL39bsrgeam_wf_per_row_multipass_2_3_kernelILj256ELj3ELj64EfEEv20rocsparse_direction_iiiNS_24const_host_device_scalarIT2_EEPKiS6_PKS3_S4_S6_S6_S8_S6_PiPS3_21rocsparse_index_base_SB_SB_b.has_indirect_call, 0
	.section	.AMDGPU.csdata,"",@progbits
; Kernel info:
; codeLenInByte = 3376
; TotalNumSgprs: 42
; NumVgprs: 61
; ScratchSize: 0
; MemoryBound: 0
; FloatMode: 240
; IeeeMode: 1
; LDSByteSize: 9472 bytes/workgroup (compile time only)
; SGPRBlocks: 12
; VGPRBlocks: 15
; NumSGPRsForWavesPerEU: 97
; NumVGPRsForWavesPerEU: 61
; Occupancy: 4
; WaveLimiterHint : 1
; COMPUTE_PGM_RSRC2:SCRATCH_EN: 0
; COMPUTE_PGM_RSRC2:USER_SGPR: 6
; COMPUTE_PGM_RSRC2:TRAP_HANDLER: 0
; COMPUTE_PGM_RSRC2:TGID_X_EN: 1
; COMPUTE_PGM_RSRC2:TGID_Y_EN: 0
; COMPUTE_PGM_RSRC2:TGID_Z_EN: 0
; COMPUTE_PGM_RSRC2:TIDIG_COMP_CNT: 0
	.section	.text._ZN9rocsparseL35bsrgeam_wf_per_row_multipass_kernelILj64ELj4EfEEv20rocsparse_direction_iiiNS_24const_host_device_scalarIT1_EEPKiS6_PKS3_S4_S6_S6_S8_S6_PiPS3_21rocsparse_index_base_SB_SB_b,"axG",@progbits,_ZN9rocsparseL35bsrgeam_wf_per_row_multipass_kernelILj64ELj4EfEEv20rocsparse_direction_iiiNS_24const_host_device_scalarIT1_EEPKiS6_PKS3_S4_S6_S6_S8_S6_PiPS3_21rocsparse_index_base_SB_SB_b,comdat
	.globl	_ZN9rocsparseL35bsrgeam_wf_per_row_multipass_kernelILj64ELj4EfEEv20rocsparse_direction_iiiNS_24const_host_device_scalarIT1_EEPKiS6_PKS3_S4_S6_S6_S8_S6_PiPS3_21rocsparse_index_base_SB_SB_b ; -- Begin function _ZN9rocsparseL35bsrgeam_wf_per_row_multipass_kernelILj64ELj4EfEEv20rocsparse_direction_iiiNS_24const_host_device_scalarIT1_EEPKiS6_PKS3_S4_S6_S6_S8_S6_PiPS3_21rocsparse_index_base_SB_SB_b
	.p2align	8
	.type	_ZN9rocsparseL35bsrgeam_wf_per_row_multipass_kernelILj64ELj4EfEEv20rocsparse_direction_iiiNS_24const_host_device_scalarIT1_EEPKiS6_PKS3_S4_S6_S6_S8_S6_PiPS3_21rocsparse_index_base_SB_SB_b,@function
_ZN9rocsparseL35bsrgeam_wf_per_row_multipass_kernelILj64ELj4EfEEv20rocsparse_direction_iiiNS_24const_host_device_scalarIT1_EEPKiS6_PKS3_S4_S6_S6_S8_S6_PiPS3_21rocsparse_index_base_SB_SB_b: ; @_ZN9rocsparseL35bsrgeam_wf_per_row_multipass_kernelILj64ELj4EfEEv20rocsparse_direction_iiiNS_24const_host_device_scalarIT1_EEPKiS6_PKS3_S4_S6_S6_S8_S6_PiPS3_21rocsparse_index_base_SB_SB_b
; %bb.0:
	s_load_dwordx4 s[8:11], s[4:5], 0x68
	s_load_dwordx2 s[20:21], s[4:5], 0x10
	s_load_dwordx2 s[22:23], s[4:5], 0x30
	s_waitcnt lgkmcnt(0)
	s_bitcmp1_b32 s11, 0
	s_cselect_b64 s[2:3], -1, 0
	s_xor_b64 s[0:1], s[2:3], -1
	s_and_b64 vcc, exec, s[2:3]
	s_cbranch_vccnz .LBB4_2
; %bb.1:
	s_load_dword s20, s[20:21], 0x0
.LBB4_2:
	s_nop 0
	s_load_dwordx2 s[16:17], s[4:5], 0x18
	s_andn2_b64 vcc, exec, s[0:1]
	s_cbranch_vccnz .LBB4_4
; %bb.3:
	s_load_dword s22, s[22:23], 0x0
.LBB4_4:
	s_nop 0
	s_load_dwordx4 s[12:15], s[4:5], 0x0
	v_lshrrev_b32_e32 v9, 4, v0
	v_lshl_or_b32 v6, s6, 2, v9
	v_mov_b32_e32 v14, 0
	v_ashrrev_i32_e32 v7, 31, v6
	s_waitcnt lgkmcnt(0)
	v_cmp_le_i32_e32 vcc, s13, v6
	v_cmp_gt_i32_e64 s[0:1], s13, v6
	v_mov_b32_e32 v1, 0
	s_and_saveexec_b64 s[6:7], s[0:1]
	s_cbranch_execz .LBB4_6
; %bb.5:
	v_lshlrev_b64 v[1:2], 2, v[6:7]
	v_mov_b32_e32 v3, s17
	v_add_co_u32_e64 v1, s[2:3], s16, v1
	v_addc_co_u32_e64 v2, s[2:3], v3, v2, s[2:3]
	global_load_dword v1, v[1:2], off
	s_waitcnt vmcnt(0)
	v_subrev_u32_e32 v1, s8, v1
.LBB4_6:
	s_or_b64 exec, exec, s[6:7]
	s_load_dwordx2 s[6:7], s[4:5], 0x38
	s_and_saveexec_b64 s[18:19], s[0:1]
	s_cbranch_execz .LBB4_8
; %bb.7:
	v_lshlrev_b64 v[2:3], 2, v[6:7]
	v_mov_b32_e32 v4, s17
	v_add_co_u32_e64 v2, s[2:3], s16, v2
	v_addc_co_u32_e64 v3, s[2:3], v4, v3, s[2:3]
	global_load_dword v2, v[2:3], off offset:4
	s_waitcnt vmcnt(0)
	v_subrev_u32_e32 v14, s8, v2
.LBB4_8:
	s_or_b64 exec, exec, s[18:19]
	v_mov_b32_e32 v15, 0
	v_mov_b32_e32 v3, 0
	s_and_saveexec_b64 s[16:17], s[0:1]
	s_cbranch_execz .LBB4_10
; %bb.9:
	v_lshlrev_b64 v[2:3], 2, v[6:7]
	s_waitcnt lgkmcnt(0)
	v_mov_b32_e32 v4, s7
	v_add_co_u32_e64 v2, s[2:3], s6, v2
	v_addc_co_u32_e64 v3, s[2:3], v4, v3, s[2:3]
	global_load_dword v2, v[2:3], off
	s_waitcnt vmcnt(0)
	v_subrev_u32_e32 v3, s9, v2
.LBB4_10:
	s_or_b64 exec, exec, s[16:17]
	s_and_saveexec_b64 s[16:17], s[0:1]
	s_cbranch_execz .LBB4_12
; %bb.11:
	v_lshlrev_b64 v[4:5], 2, v[6:7]
	s_waitcnt lgkmcnt(0)
	v_mov_b32_e32 v2, s7
	v_add_co_u32_e64 v4, s[2:3], s6, v4
	v_addc_co_u32_e64 v5, s[2:3], v2, v5, s[2:3]
	global_load_dword v2, v[4:5], off offset:4
	s_waitcnt vmcnt(0)
	v_subrev_u32_e32 v15, s9, v2
.LBB4_12:
	s_or_b64 exec, exec, s[16:17]
	s_load_dwordx2 s[24:25], s[4:5], 0x20
	v_mov_b32_e32 v5, 0
	s_and_saveexec_b64 s[2:3], s[0:1]
	s_cbranch_execz .LBB4_14
; %bb.13:
	s_load_dwordx2 s[0:1], s[4:5], 0x50
	v_lshlrev_b64 v[4:5], 2, v[6:7]
	s_waitcnt lgkmcnt(0)
	v_mov_b32_e32 v2, s1
	v_add_co_u32_e64 v4, s[0:1], s0, v4
	v_addc_co_u32_e64 v5, s[0:1], v2, v5, s[0:1]
	global_load_dword v2, v[4:5], off
	s_waitcnt vmcnt(0)
	v_subrev_u32_e32 v5, s10, v2
.LBB4_14:
	s_or_b64 exec, exec, s[2:3]
	s_load_dwordx2 s[26:27], s[4:5], 0x40
	v_cmp_lt_i32_e64 s[0:1], v1, v14
	v_mov_b32_e32 v2, s14
	s_and_saveexec_b64 s[2:3], s[0:1]
	s_cbranch_execz .LBB4_16
; %bb.15:
	v_ashrrev_i32_e32 v2, 31, v1
	v_lshlrev_b64 v[6:7], 2, v[1:2]
	s_waitcnt lgkmcnt(0)
	v_mov_b32_e32 v2, s25
	v_add_co_u32_e64 v6, s[0:1], s24, v6
	v_addc_co_u32_e64 v7, s[0:1], v2, v7, s[0:1]
	global_load_dword v2, v[6:7], off
	s_waitcnt vmcnt(0)
	v_subrev_u32_e32 v2, s8, v2
.LBB4_16:
	s_or_b64 exec, exec, s[2:3]
	v_cmp_lt_i32_e64 s[0:1], v3, v15
	v_mov_b32_e32 v4, s14
	s_and_saveexec_b64 s[2:3], s[0:1]
	s_cbranch_execz .LBB4_18
; %bb.17:
	v_ashrrev_i32_e32 v4, 31, v3
	v_lshlrev_b64 v[6:7], 2, v[3:4]
	s_waitcnt lgkmcnt(0)
	v_mov_b32_e32 v4, s27
	v_add_co_u32_e64 v6, s[0:1], s26, v6
	v_addc_co_u32_e64 v7, s[0:1], v4, v7, s[0:1]
	global_load_dword v4, v[6:7], off
	s_waitcnt vmcnt(0)
	v_subrev_u32_e32 v4, s9, v4
.LBB4_18:
	s_or_b64 exec, exec, s[2:3]
	v_cndmask_b32_e64 v7, 0, 1, vcc
	v_lshlrev_b32_e32 v6, 2, v9
	v_mov_b32_e32 v16, 0
	ds_write_b32 v6, v7 offset:256
	s_waitcnt lgkmcnt(0)
	; wave barrier
	ds_read_b32 v7, v16 offset:256
	s_waitcnt lgkmcnt(0)
	v_cmp_lt_u32_e32 vcc, 3, v7
	s_cbranch_vccnz .LBB4_58
; %bb.19:
	v_or_b32_e32 v17, 0x100, v6
	v_and_b32_e32 v7, 3, v0
	v_bfe_u32 v8, v0, 2, 2
	v_min_i32_e32 v6, v4, v2
	v_mov_b32_e32 v2, 0x110
	s_load_dwordx4 s[16:19], s[4:5], 0x58
	s_load_dwordx2 s[28:29], s[4:5], 0x28
	s_load_dwordx2 s[30:31], s[4:5], 0x48
	v_lshl_or_b32 v18, v9, 2, v2
	v_max_i32_e32 v2, v8, v7
	v_cmp_gt_i32_e64 s[0:1], s15, v2
	v_and_b32_e32 v2, 48, v0
	s_cmp_lg_u32 s12, 0
	v_lshlrev_b32_e32 v2, 2, v2
	v_lshlrev_b32_e32 v4, 4, v8
	;; [unrolled: 1-line block ×3, first 2 shown]
	s_cselect_b64 s[34:35], -1, 0
	s_cmp_eq_u32 s12, 0
	v_or3_b32 v20, v2, v4, v9
	v_lshlrev_b32_e32 v4, 4, v7
	v_lshlrev_b32_e32 v9, 2, v8
	v_lshlrev_b32_e32 v19, 2, v0
	v_or3_b32 v21, v2, v4, v9
	s_cselect_b64 vcc, -1, 0
	v_cmp_gt_u32_e64 s[2:3], 2, v0
	v_or_b32_e32 v22, 0x100, v19
	v_cmp_eq_u32_e64 s[4:5], 0, v0
	v_cndmask_b32_e32 v0, v8, v7, vcc
	v_cndmask_b32_e32 v9, v7, v8, vcc
	;; [unrolled: 1-line block ×3, first 2 shown]
	s_mul_i32 s11, s15, s15
	v_mov_b32_e32 v24, 1
	s_branch .LBB4_21
.LBB4_20:                               ;   in Loop: Header=BB4_21 Depth=1
	s_or_b64 exec, exec, s[6:7]
	s_waitcnt lgkmcnt(0)
	; wave barrier
	ds_read_b32 v4, v16 offset:256
	v_add_u32_e32 v5, 1, v5
	v_mov_b32_e32 v6, v2
	s_waitcnt lgkmcnt(0)
	v_cmp_gt_u32_e32 vcc, 4, v4
	s_cbranch_vccz .LBB4_58
.LBB4_21:                               ; =>This Loop Header: Depth=1
                                        ;     Child Loop BB4_24 Depth 2
                                        ;     Child Loop BB4_39 Depth 2
	v_cmp_lt_i32_e32 vcc, v1, v14
	v_mov_b32_e32 v2, s14
	ds_write_b32 v18, v16
	ds_write_b32 v19, v16
	s_waitcnt lgkmcnt(0)
	; wave barrier
	s_and_saveexec_b64 s[12:13], vcc
	s_cbranch_execz .LBB4_36
; %bb.22:                               ;   in Loop: Header=BB4_21 Depth=1
	v_mul_lo_u32 v2, s15, v1
	s_mov_b64 s[36:37], 0
	v_add_u32_e32 v4, v7, v2
	v_add_u32_e32 v2, v8, v2
	v_mad_u64_u32 v[10:11], s[6:7], s15, v4, v[8:9]
	v_mad_u64_u32 v[11:12], s[6:7], s15, v2, v[7:8]
	v_ashrrev_i32_e32 v2, 31, v1
	v_lshlrev_b64 v[12:13], 2, v[1:2]
	v_mov_b32_e32 v2, s25
	v_add_co_u32_e32 v12, vcc, s24, v12
	v_addc_co_u32_e32 v13, vcc, v2, v13, vcc
	v_mov_b32_e32 v4, 0
	v_mov_b32_e32 v2, s14
	s_branch .LBB4_24
.LBB4_23:                               ;   in Loop: Header=BB4_24 Depth=2
	s_or_b64 exec, exec, s[40:41]
	s_and_b64 s[6:7], exec, s[38:39]
	v_mov_b32_e32 v26, v1
	s_or_b64 s[36:37], s[6:7], s[36:37]
	v_mov_b32_e32 v1, v25
	s_andn2_b64 exec, exec, s[36:37]
	s_cbranch_execz .LBB4_35
.LBB4_24:                               ;   Parent Loop BB4_21 Depth=1
                                        ; =>  This Inner Loop Header: Depth=2
	global_load_dword v25, v[12:13], off
	s_waitcnt vmcnt(0)
	v_subrev_u32_e32 v25, s8, v25
	v_cmp_le_i32_e64 s[6:7], v25, v6
	s_and_saveexec_b64 s[38:39], s[6:7]
	s_xor_b64 s[38:39], exec, s[38:39]
	s_cbranch_execz .LBB4_31
; %bb.25:                               ;   in Loop: Header=BB4_24 Depth=2
	ds_write_b32 v18, v24
	s_and_saveexec_b64 s[40:41], s[0:1]
	s_cbranch_execz .LBB4_30
; %bb.26:                               ;   in Loop: Header=BB4_24 Depth=2
	s_mov_b64 s[42:43], -1
	s_and_b64 vcc, exec, s[34:35]
	s_cbranch_vccz .LBB4_28
; %bb.27:                               ;   in Loop: Header=BB4_24 Depth=2
	v_add_u32_e32 v25, v11, v4
	v_ashrrev_i32_e32 v26, 31, v25
	v_lshlrev_b64 v[25:26], 2, v[25:26]
	v_mov_b32_e32 v27, s29
	v_add_co_u32_e32 v25, vcc, s28, v25
	v_addc_co_u32_e32 v26, vcc, v27, v26, vcc
	global_load_dword v25, v[25:26], off
	s_mov_b64 s[42:43], 0
	s_waitcnt vmcnt(0)
	v_mul_f32_e32 v25, s20, v25
	ds_write_b32 v20, v25
.LBB4_28:                               ;   in Loop: Header=BB4_24 Depth=2
	s_andn2_b64 vcc, exec, s[42:43]
	s_cbranch_vccnz .LBB4_30
; %bb.29:                               ;   in Loop: Header=BB4_24 Depth=2
	v_add_u32_e32 v25, v10, v4
	v_ashrrev_i32_e32 v26, 31, v25
	v_lshlrev_b64 v[25:26], 2, v[25:26]
	v_mov_b32_e32 v27, s29
	v_add_co_u32_e32 v25, vcc, s28, v25
	v_addc_co_u32_e32 v26, vcc, v27, v26, vcc
	global_load_dword v25, v[25:26], off
	s_waitcnt vmcnt(0)
	v_mul_f32_e32 v25, s20, v25
	ds_write_b32 v21, v25
.LBB4_30:                               ;   in Loop: Header=BB4_24 Depth=2
	s_or_b64 exec, exec, s[40:41]
                                        ; implicit-def: $vgpr25
	s_andn2_saveexec_b64 s[38:39], s[38:39]
	s_branch .LBB4_32
.LBB4_31:                               ;   in Loop: Header=BB4_24 Depth=2
	s_andn2_saveexec_b64 s[38:39], s[38:39]
.LBB4_32:                               ;   in Loop: Header=BB4_24 Depth=2
	v_min_i32_e32 v2, v25, v2
; %bb.33:                               ;   in Loop: Header=BB4_24 Depth=2
	s_or_b64 exec, exec, s[38:39]
	s_mov_b64 s[38:39], -1
                                        ; implicit-def: $vgpr25
	s_and_saveexec_b64 s[40:41], s[6:7]
	s_cbranch_execz .LBB4_23
; %bb.34:                               ;   in Loop: Header=BB4_24 Depth=2
	v_add_co_u32_e32 v12, vcc, 4, v12
	v_add_u32_e32 v25, 1, v1
	v_addc_co_u32_e32 v13, vcc, 0, v13, vcc
	v_cmp_ge_i32_e32 vcc, v25, v14
	v_add_u32_e32 v4, s11, v4
	s_orn2_b64 s[38:39], vcc, exec
	v_mov_b32_e32 v1, v14
	s_branch .LBB4_23
.LBB4_35:                               ;   in Loop: Header=BB4_21 Depth=1
	s_or_b64 exec, exec, s[36:37]
	v_mov_b32_e32 v1, v26
.LBB4_36:                               ;   in Loop: Header=BB4_21 Depth=1
	s_or_b64 exec, exec, s[12:13]
	v_cmp_lt_i32_e32 vcc, v3, v15
	s_waitcnt lgkmcnt(0)
	; wave barrier
	s_and_saveexec_b64 s[12:13], vcc
	s_cbranch_execz .LBB4_51
; %bb.37:                               ;   in Loop: Header=BB4_21 Depth=1
	v_mul_lo_u32 v4, s15, v3
	s_mov_b64 s[36:37], 0
	v_add_u32_e32 v10, v7, v4
	v_add_u32_e32 v4, v8, v4
	v_mad_u64_u32 v[10:11], s[6:7], s15, v10, v[8:9]
	v_mad_u64_u32 v[11:12], s[6:7], s15, v4, v[7:8]
	v_ashrrev_i32_e32 v4, 31, v3
	v_lshlrev_b64 v[12:13], 2, v[3:4]
	v_mov_b32_e32 v4, s27
	v_add_co_u32_e32 v12, vcc, s26, v12
	v_addc_co_u32_e32 v13, vcc, v4, v13, vcc
	v_mov_b32_e32 v4, 0
	s_branch .LBB4_39
.LBB4_38:                               ;   in Loop: Header=BB4_39 Depth=2
	s_or_b64 exec, exec, s[40:41]
	s_and_b64 s[6:7], exec, s[38:39]
	v_mov_b32_e32 v26, v3
	s_or_b64 s[36:37], s[6:7], s[36:37]
	v_mov_b32_e32 v3, v25
	s_andn2_b64 exec, exec, s[36:37]
	s_cbranch_execz .LBB4_50
.LBB4_39:                               ;   Parent Loop BB4_21 Depth=1
                                        ; =>  This Inner Loop Header: Depth=2
	global_load_dword v25, v[12:13], off
	s_waitcnt vmcnt(0)
	v_subrev_u32_e32 v25, s9, v25
	v_cmp_le_i32_e64 s[6:7], v25, v6
	s_and_saveexec_b64 s[38:39], s[6:7]
	s_xor_b64 s[38:39], exec, s[38:39]
	s_cbranch_execz .LBB4_46
; %bb.40:                               ;   in Loop: Header=BB4_39 Depth=2
	ds_write_b32 v18, v24
	s_and_saveexec_b64 s[40:41], s[0:1]
	s_cbranch_execz .LBB4_45
; %bb.41:                               ;   in Loop: Header=BB4_39 Depth=2
	s_mov_b64 s[42:43], -1
	s_and_b64 vcc, exec, s[34:35]
	s_cbranch_vccz .LBB4_43
; %bb.42:                               ;   in Loop: Header=BB4_39 Depth=2
	v_add_u32_e32 v25, v11, v4
	v_ashrrev_i32_e32 v26, 31, v25
	v_lshlrev_b64 v[25:26], 2, v[25:26]
	v_mov_b32_e32 v27, s31
	v_add_co_u32_e32 v25, vcc, s30, v25
	v_addc_co_u32_e32 v26, vcc, v27, v26, vcc
	global_load_dword v25, v[25:26], off
	ds_read_b32 v26, v20
	s_mov_b64 s[42:43], 0
	s_waitcnt vmcnt(0) lgkmcnt(0)
	v_fmac_f32_e32 v26, s22, v25
	ds_write_b32 v20, v26
.LBB4_43:                               ;   in Loop: Header=BB4_39 Depth=2
	s_andn2_b64 vcc, exec, s[42:43]
	s_cbranch_vccnz .LBB4_45
; %bb.44:                               ;   in Loop: Header=BB4_39 Depth=2
	v_add_u32_e32 v25, v10, v4
	v_ashrrev_i32_e32 v26, 31, v25
	v_lshlrev_b64 v[25:26], 2, v[25:26]
	v_mov_b32_e32 v27, s31
	v_add_co_u32_e32 v25, vcc, s30, v25
	v_addc_co_u32_e32 v26, vcc, v27, v26, vcc
	global_load_dword v25, v[25:26], off
	ds_read_b32 v26, v21
	s_waitcnt vmcnt(0) lgkmcnt(0)
	v_fmac_f32_e32 v26, s22, v25
	ds_write_b32 v21, v26
.LBB4_45:                               ;   in Loop: Header=BB4_39 Depth=2
	s_or_b64 exec, exec, s[40:41]
                                        ; implicit-def: $vgpr25
	s_andn2_saveexec_b64 s[38:39], s[38:39]
	s_branch .LBB4_47
.LBB4_46:                               ;   in Loop: Header=BB4_39 Depth=2
	s_andn2_saveexec_b64 s[38:39], s[38:39]
.LBB4_47:                               ;   in Loop: Header=BB4_39 Depth=2
	v_min_i32_e32 v2, v25, v2
; %bb.48:                               ;   in Loop: Header=BB4_39 Depth=2
	s_or_b64 exec, exec, s[38:39]
	s_mov_b64 s[38:39], -1
                                        ; implicit-def: $vgpr25
	s_and_saveexec_b64 s[40:41], s[6:7]
	s_cbranch_execz .LBB4_38
; %bb.49:                               ;   in Loop: Header=BB4_39 Depth=2
	v_add_co_u32_e32 v12, vcc, 4, v12
	v_add_u32_e32 v25, 1, v3
	v_addc_co_u32_e32 v13, vcc, 0, v13, vcc
	v_cmp_ge_i32_e32 vcc, v25, v15
	v_add_u32_e32 v4, s11, v4
	s_orn2_b64 s[38:39], vcc, exec
	v_mov_b32_e32 v3, v15
	s_branch .LBB4_38
.LBB4_50:                               ;   in Loop: Header=BB4_21 Depth=1
	s_or_b64 exec, exec, s[36:37]
	v_mov_b32_e32 v3, v26
.LBB4_51:                               ;   in Loop: Header=BB4_21 Depth=1
	s_or_b64 exec, exec, s[12:13]
	s_waitcnt lgkmcnt(0)
	; wave barrier
	ds_read_b32 v4, v18
	s_waitcnt lgkmcnt(0)
	v_cmp_ne_u32_e32 vcc, 0, v4
	s_and_saveexec_b64 s[6:7], vcc
	s_cbranch_execz .LBB4_54
; %bb.52:                               ;   in Loop: Header=BB4_21 Depth=1
	v_add_u32_e32 v4, s10, v6
	v_ashrrev_i32_e32 v6, 31, v5
	v_lshlrev_b64 v[10:11], 2, v[5:6]
	v_mov_b32_e32 v6, s17
	v_add_co_u32_e32 v10, vcc, s16, v10
	v_addc_co_u32_e32 v11, vcc, v6, v11, vcc
	global_store_dword v[10:11], v4, off
	s_and_b64 exec, exec, s[0:1]
	s_cbranch_execz .LBB4_54
; %bb.53:                               ;   in Loop: Header=BB4_21 Depth=1
	v_mad_u64_u32 v[10:11], s[12:13], v5, s15, v[0:1]
	ds_read_b32 v4, v23
	v_mov_b32_e32 v6, s19
	v_mad_u64_u32 v[10:11], s[12:13], v10, s15, v[9:10]
	v_ashrrev_i32_e32 v11, 31, v10
	v_lshlrev_b64 v[10:11], 2, v[10:11]
	v_add_co_u32_e32 v10, vcc, s18, v10
	v_addc_co_u32_e32 v11, vcc, v6, v11, vcc
	s_waitcnt lgkmcnt(0)
	global_store_dword v[10:11], v4, off
.LBB4_54:                               ;   in Loop: Header=BB4_21 Depth=1
	s_or_b64 exec, exec, s[6:7]
	v_cmp_le_i32_e32 vcc, s14, v2
	v_cndmask_b32_e64 v4, 0, 1, vcc
	; wave barrier
	; wave barrier
	ds_write_b32 v17, v4
	s_waitcnt lgkmcnt(0)
	; wave barrier
	s_and_saveexec_b64 s[6:7], s[2:3]
	s_cbranch_execz .LBB4_56
; %bb.55:                               ;   in Loop: Header=BB4_21 Depth=1
	ds_read2_b32 v[10:11], v22 offset1:2
	s_waitcnt lgkmcnt(0)
	v_add_u32_e32 v4, v11, v10
	ds_write_b32 v22, v4
.LBB4_56:                               ;   in Loop: Header=BB4_21 Depth=1
	s_or_b64 exec, exec, s[6:7]
	s_waitcnt lgkmcnt(0)
	; wave barrier
	s_and_saveexec_b64 s[6:7], s[4:5]
	s_cbranch_execz .LBB4_20
; %bb.57:                               ;   in Loop: Header=BB4_21 Depth=1
	ds_read_b64 v[10:11], v16 offset:256
	s_waitcnt lgkmcnt(0)
	v_add_u32_e32 v4, v11, v10
	ds_write_b32 v16, v4 offset:256
	s_branch .LBB4_20
.LBB4_58:
	s_endpgm
	.section	.rodata,"a",@progbits
	.p2align	6, 0x0
	.amdhsa_kernel _ZN9rocsparseL35bsrgeam_wf_per_row_multipass_kernelILj64ELj4EfEEv20rocsparse_direction_iiiNS_24const_host_device_scalarIT1_EEPKiS6_PKS3_S4_S6_S6_S8_S6_PiPS3_21rocsparse_index_base_SB_SB_b
		.amdhsa_group_segment_fixed_size 288
		.amdhsa_private_segment_fixed_size 0
		.amdhsa_kernarg_size 120
		.amdhsa_user_sgpr_count 6
		.amdhsa_user_sgpr_private_segment_buffer 1
		.amdhsa_user_sgpr_dispatch_ptr 0
		.amdhsa_user_sgpr_queue_ptr 0
		.amdhsa_user_sgpr_kernarg_segment_ptr 1
		.amdhsa_user_sgpr_dispatch_id 0
		.amdhsa_user_sgpr_flat_scratch_init 0
		.amdhsa_user_sgpr_private_segment_size 0
		.amdhsa_uses_dynamic_stack 0
		.amdhsa_system_sgpr_private_segment_wavefront_offset 0
		.amdhsa_system_sgpr_workgroup_id_x 1
		.amdhsa_system_sgpr_workgroup_id_y 0
		.amdhsa_system_sgpr_workgroup_id_z 0
		.amdhsa_system_sgpr_workgroup_info 0
		.amdhsa_system_vgpr_workitem_id 0
		.amdhsa_next_free_vgpr 28
		.amdhsa_next_free_sgpr 44
		.amdhsa_reserve_vcc 1
		.amdhsa_reserve_flat_scratch 0
		.amdhsa_float_round_mode_32 0
		.amdhsa_float_round_mode_16_64 0
		.amdhsa_float_denorm_mode_32 3
		.amdhsa_float_denorm_mode_16_64 3
		.amdhsa_dx10_clamp 1
		.amdhsa_ieee_mode 1
		.amdhsa_fp16_overflow 0
		.amdhsa_exception_fp_ieee_invalid_op 0
		.amdhsa_exception_fp_denorm_src 0
		.amdhsa_exception_fp_ieee_div_zero 0
		.amdhsa_exception_fp_ieee_overflow 0
		.amdhsa_exception_fp_ieee_underflow 0
		.amdhsa_exception_fp_ieee_inexact 0
		.amdhsa_exception_int_div_zero 0
	.end_amdhsa_kernel
	.section	.text._ZN9rocsparseL35bsrgeam_wf_per_row_multipass_kernelILj64ELj4EfEEv20rocsparse_direction_iiiNS_24const_host_device_scalarIT1_EEPKiS6_PKS3_S4_S6_S6_S8_S6_PiPS3_21rocsparse_index_base_SB_SB_b,"axG",@progbits,_ZN9rocsparseL35bsrgeam_wf_per_row_multipass_kernelILj64ELj4EfEEv20rocsparse_direction_iiiNS_24const_host_device_scalarIT1_EEPKiS6_PKS3_S4_S6_S6_S8_S6_PiPS3_21rocsparse_index_base_SB_SB_b,comdat
.Lfunc_end4:
	.size	_ZN9rocsparseL35bsrgeam_wf_per_row_multipass_kernelILj64ELj4EfEEv20rocsparse_direction_iiiNS_24const_host_device_scalarIT1_EEPKiS6_PKS3_S4_S6_S6_S8_S6_PiPS3_21rocsparse_index_base_SB_SB_b, .Lfunc_end4-_ZN9rocsparseL35bsrgeam_wf_per_row_multipass_kernelILj64ELj4EfEEv20rocsparse_direction_iiiNS_24const_host_device_scalarIT1_EEPKiS6_PKS3_S4_S6_S6_S8_S6_PiPS3_21rocsparse_index_base_SB_SB_b
                                        ; -- End function
	.set _ZN9rocsparseL35bsrgeam_wf_per_row_multipass_kernelILj64ELj4EfEEv20rocsparse_direction_iiiNS_24const_host_device_scalarIT1_EEPKiS6_PKS3_S4_S6_S6_S8_S6_PiPS3_21rocsparse_index_base_SB_SB_b.num_vgpr, 28
	.set _ZN9rocsparseL35bsrgeam_wf_per_row_multipass_kernelILj64ELj4EfEEv20rocsparse_direction_iiiNS_24const_host_device_scalarIT1_EEPKiS6_PKS3_S4_S6_S6_S8_S6_PiPS3_21rocsparse_index_base_SB_SB_b.num_agpr, 0
	.set _ZN9rocsparseL35bsrgeam_wf_per_row_multipass_kernelILj64ELj4EfEEv20rocsparse_direction_iiiNS_24const_host_device_scalarIT1_EEPKiS6_PKS3_S4_S6_S6_S8_S6_PiPS3_21rocsparse_index_base_SB_SB_b.numbered_sgpr, 44
	.set _ZN9rocsparseL35bsrgeam_wf_per_row_multipass_kernelILj64ELj4EfEEv20rocsparse_direction_iiiNS_24const_host_device_scalarIT1_EEPKiS6_PKS3_S4_S6_S6_S8_S6_PiPS3_21rocsparse_index_base_SB_SB_b.num_named_barrier, 0
	.set _ZN9rocsparseL35bsrgeam_wf_per_row_multipass_kernelILj64ELj4EfEEv20rocsparse_direction_iiiNS_24const_host_device_scalarIT1_EEPKiS6_PKS3_S4_S6_S6_S8_S6_PiPS3_21rocsparse_index_base_SB_SB_b.private_seg_size, 0
	.set _ZN9rocsparseL35bsrgeam_wf_per_row_multipass_kernelILj64ELj4EfEEv20rocsparse_direction_iiiNS_24const_host_device_scalarIT1_EEPKiS6_PKS3_S4_S6_S6_S8_S6_PiPS3_21rocsparse_index_base_SB_SB_b.uses_vcc, 1
	.set _ZN9rocsparseL35bsrgeam_wf_per_row_multipass_kernelILj64ELj4EfEEv20rocsparse_direction_iiiNS_24const_host_device_scalarIT1_EEPKiS6_PKS3_S4_S6_S6_S8_S6_PiPS3_21rocsparse_index_base_SB_SB_b.uses_flat_scratch, 0
	.set _ZN9rocsparseL35bsrgeam_wf_per_row_multipass_kernelILj64ELj4EfEEv20rocsparse_direction_iiiNS_24const_host_device_scalarIT1_EEPKiS6_PKS3_S4_S6_S6_S8_S6_PiPS3_21rocsparse_index_base_SB_SB_b.has_dyn_sized_stack, 0
	.set _ZN9rocsparseL35bsrgeam_wf_per_row_multipass_kernelILj64ELj4EfEEv20rocsparse_direction_iiiNS_24const_host_device_scalarIT1_EEPKiS6_PKS3_S4_S6_S6_S8_S6_PiPS3_21rocsparse_index_base_SB_SB_b.has_recursion, 0
	.set _ZN9rocsparseL35bsrgeam_wf_per_row_multipass_kernelILj64ELj4EfEEv20rocsparse_direction_iiiNS_24const_host_device_scalarIT1_EEPKiS6_PKS3_S4_S6_S6_S8_S6_PiPS3_21rocsparse_index_base_SB_SB_b.has_indirect_call, 0
	.section	.AMDGPU.csdata,"",@progbits
; Kernel info:
; codeLenInByte = 1916
; TotalNumSgprs: 48
; NumVgprs: 28
; ScratchSize: 0
; MemoryBound: 0
; FloatMode: 240
; IeeeMode: 1
; LDSByteSize: 288 bytes/workgroup (compile time only)
; SGPRBlocks: 5
; VGPRBlocks: 6
; NumSGPRsForWavesPerEU: 48
; NumVGPRsForWavesPerEU: 28
; Occupancy: 9
; WaveLimiterHint : 0
; COMPUTE_PGM_RSRC2:SCRATCH_EN: 0
; COMPUTE_PGM_RSRC2:USER_SGPR: 6
; COMPUTE_PGM_RSRC2:TRAP_HANDLER: 0
; COMPUTE_PGM_RSRC2:TGID_X_EN: 1
; COMPUTE_PGM_RSRC2:TGID_Y_EN: 0
; COMPUTE_PGM_RSRC2:TGID_Z_EN: 0
; COMPUTE_PGM_RSRC2:TIDIG_COMP_CNT: 0
	.section	.text._ZN9rocsparseL35bsrgeam_wf_per_row_multipass_kernelILj64ELj8EfEEv20rocsparse_direction_iiiNS_24const_host_device_scalarIT1_EEPKiS6_PKS3_S4_S6_S6_S8_S6_PiPS3_21rocsparse_index_base_SB_SB_b,"axG",@progbits,_ZN9rocsparseL35bsrgeam_wf_per_row_multipass_kernelILj64ELj8EfEEv20rocsparse_direction_iiiNS_24const_host_device_scalarIT1_EEPKiS6_PKS3_S4_S6_S6_S8_S6_PiPS3_21rocsparse_index_base_SB_SB_b,comdat
	.globl	_ZN9rocsparseL35bsrgeam_wf_per_row_multipass_kernelILj64ELj8EfEEv20rocsparse_direction_iiiNS_24const_host_device_scalarIT1_EEPKiS6_PKS3_S4_S6_S6_S8_S6_PiPS3_21rocsparse_index_base_SB_SB_b ; -- Begin function _ZN9rocsparseL35bsrgeam_wf_per_row_multipass_kernelILj64ELj8EfEEv20rocsparse_direction_iiiNS_24const_host_device_scalarIT1_EEPKiS6_PKS3_S4_S6_S6_S8_S6_PiPS3_21rocsparse_index_base_SB_SB_b
	.p2align	8
	.type	_ZN9rocsparseL35bsrgeam_wf_per_row_multipass_kernelILj64ELj8EfEEv20rocsparse_direction_iiiNS_24const_host_device_scalarIT1_EEPKiS6_PKS3_S4_S6_S6_S8_S6_PiPS3_21rocsparse_index_base_SB_SB_b,@function
_ZN9rocsparseL35bsrgeam_wf_per_row_multipass_kernelILj64ELj8EfEEv20rocsparse_direction_iiiNS_24const_host_device_scalarIT1_EEPKiS6_PKS3_S4_S6_S6_S8_S6_PiPS3_21rocsparse_index_base_SB_SB_b: ; @_ZN9rocsparseL35bsrgeam_wf_per_row_multipass_kernelILj64ELj8EfEEv20rocsparse_direction_iiiNS_24const_host_device_scalarIT1_EEPKiS6_PKS3_S4_S6_S6_S8_S6_PiPS3_21rocsparse_index_base_SB_SB_b
; %bb.0:
	s_load_dwordx4 s[8:11], s[4:5], 0x68
	s_load_dwordx2 s[20:21], s[4:5], 0x10
	s_load_dwordx2 s[22:23], s[4:5], 0x30
	s_waitcnt lgkmcnt(0)
	s_bitcmp1_b32 s11, 0
	s_cselect_b64 s[2:3], -1, 0
	s_xor_b64 s[0:1], s[2:3], -1
	s_and_b64 vcc, exec, s[2:3]
	s_cbranch_vccnz .LBB5_2
; %bb.1:
	s_load_dword s20, s[20:21], 0x0
.LBB5_2:
	s_nop 0
	s_load_dwordx2 s[18:19], s[4:5], 0x18
	s_andn2_b64 vcc, exec, s[0:1]
	s_cbranch_vccnz .LBB5_4
; %bb.3:
	s_load_dword s22, s[22:23], 0x0
.LBB5_4:
	s_nop 0
	s_load_dwordx4 s[12:15], s[4:5], 0x0
	v_mov_b32_e32 v14, 0
	v_mov_b32_e32 v4, s6
	;; [unrolled: 1-line block ×3, first 2 shown]
	s_waitcnt lgkmcnt(0)
	s_cmp_ge_i32 s6, s13
	s_cselect_b64 s[0:1], -1, 0
	s_cmp_lt_i32 s6, s13
	s_cselect_b64 s[2:3], -1, 0
	s_and_saveexec_b64 s[16:17], s[2:3]
	s_cbranch_execz .LBB5_6
; %bb.5:
	v_ashrrev_i32_e64 v5, 31, s6
	v_lshlrev_b64 v[1:2], 2, v[4:5]
	v_mov_b32_e32 v3, s19
	v_add_co_u32_e32 v1, vcc, s18, v1
	v_addc_co_u32_e32 v2, vcc, v3, v2, vcc
	global_load_dword v1, v[1:2], off
	s_waitcnt vmcnt(0)
	v_subrev_u32_e32 v1, s8, v1
.LBB5_6:
	s_or_b64 exec, exec, s[16:17]
	s_load_dwordx2 s[16:17], s[4:5], 0x38
	s_and_saveexec_b64 s[24:25], s[2:3]
	s_cbranch_execz .LBB5_8
; %bb.7:
	v_ashrrev_i32_e64 v5, 31, s6
	v_lshlrev_b64 v[2:3], 2, v[4:5]
	v_mov_b32_e32 v5, s19
	v_add_co_u32_e32 v2, vcc, s18, v2
	v_addc_co_u32_e32 v3, vcc, v5, v3, vcc
	global_load_dword v2, v[2:3], off offset:4
	s_waitcnt vmcnt(0)
	v_subrev_u32_e32 v14, s8, v2
.LBB5_8:
	s_or_b64 exec, exec, s[24:25]
	v_mov_b32_e32 v15, 0
	v_mov_b32_e32 v3, 0
	s_and_saveexec_b64 s[18:19], s[2:3]
	s_cbranch_execz .LBB5_10
; %bb.9:
	v_ashrrev_i32_e64 v5, 31, s6
	v_lshlrev_b64 v[2:3], 2, v[4:5]
	s_waitcnt lgkmcnt(0)
	v_mov_b32_e32 v5, s17
	v_add_co_u32_e32 v2, vcc, s16, v2
	v_addc_co_u32_e32 v3, vcc, v5, v3, vcc
	global_load_dword v2, v[2:3], off
	s_waitcnt vmcnt(0)
	v_subrev_u32_e32 v3, s9, v2
.LBB5_10:
	s_or_b64 exec, exec, s[18:19]
	s_and_saveexec_b64 s[18:19], s[2:3]
	s_cbranch_execz .LBB5_12
; %bb.11:
	v_ashrrev_i32_e64 v5, 31, s6
	v_lshlrev_b64 v[5:6], 2, v[4:5]
	s_waitcnt lgkmcnt(0)
	v_mov_b32_e32 v2, s17
	v_add_co_u32_e32 v5, vcc, s16, v5
	v_addc_co_u32_e32 v6, vcc, v2, v6, vcc
	global_load_dword v2, v[5:6], off offset:4
	s_waitcnt vmcnt(0)
	v_subrev_u32_e32 v15, s9, v2
.LBB5_12:
	s_or_b64 exec, exec, s[18:19]
	s_load_dwordx2 s[24:25], s[4:5], 0x20
	v_mov_b32_e32 v5, 0
	s_waitcnt lgkmcnt(0)
	s_and_saveexec_b64 s[16:17], s[2:3]
	s_cbranch_execz .LBB5_14
; %bb.13:
	s_load_dwordx2 s[2:3], s[4:5], 0x50
	v_ashrrev_i32_e64 v5, 31, s6
	v_lshlrev_b64 v[4:5], 2, v[4:5]
	s_waitcnt lgkmcnt(0)
	v_mov_b32_e32 v2, s3
	v_add_co_u32_e32 v4, vcc, s2, v4
	v_addc_co_u32_e32 v5, vcc, v2, v5, vcc
	global_load_dword v2, v[4:5], off
	s_waitcnt vmcnt(0)
	v_subrev_u32_e32 v5, s10, v2
.LBB5_14:
	s_or_b64 exec, exec, s[16:17]
	s_load_dwordx2 s[6:7], s[4:5], 0x40
	v_cmp_lt_i32_e32 vcc, v1, v14
	v_mov_b32_e32 v2, s14
	s_and_saveexec_b64 s[2:3], vcc
	s_cbranch_execz .LBB5_16
; %bb.15:
	v_ashrrev_i32_e32 v2, 31, v1
	v_lshlrev_b64 v[6:7], 2, v[1:2]
	v_mov_b32_e32 v2, s25
	v_add_co_u32_e32 v6, vcc, s24, v6
	v_addc_co_u32_e32 v7, vcc, v2, v7, vcc
	global_load_dword v2, v[6:7], off
	s_waitcnt vmcnt(0)
	v_subrev_u32_e32 v2, s8, v2
.LBB5_16:
	s_or_b64 exec, exec, s[2:3]
	v_cmp_lt_i32_e32 vcc, v3, v15
	v_mov_b32_e32 v4, s14
	s_and_saveexec_b64 s[2:3], vcc
	s_cbranch_execz .LBB5_18
; %bb.17:
	v_ashrrev_i32_e32 v4, 31, v3
	v_lshlrev_b64 v[6:7], 2, v[3:4]
	s_waitcnt lgkmcnt(0)
	v_mov_b32_e32 v4, s7
	v_add_co_u32_e32 v6, vcc, s6, v6
	v_addc_co_u32_e32 v7, vcc, v4, v7, vcc
	global_load_dword v4, v[6:7], off
	s_waitcnt vmcnt(0)
	v_subrev_u32_e32 v4, s9, v4
.LBB5_18:
	s_or_b64 exec, exec, s[2:3]
	v_cndmask_b32_e64 v6, 0, 1, s[0:1]
	v_mov_b32_e32 v16, 0
	ds_write_b32 v16, v6 offset:256
	s_waitcnt lgkmcnt(0)
	; wave barrier
	ds_read_b32 v6, v16 offset:256
	s_waitcnt lgkmcnt(0)
	v_cmp_ne_u32_e32 vcc, 0, v6
	s_cbranch_vccz .LBB5_20
.LBB5_19:
	s_endpgm
.LBB5_20:
	s_load_dwordx4 s[16:19], s[4:5], 0x58
	s_load_dwordx2 s[26:27], s[4:5], 0x28
	s_load_dwordx2 s[28:29], s[4:5], 0x48
	v_and_b32_e32 v7, 7, v0
	v_lshrrev_b32_e32 v8, 3, v0
	v_lshlrev_b32_e32 v19, 2, v0
	v_max_i32_e32 v0, v8, v7
	v_cmp_gt_i32_e64 s[0:1], s15, v0
	s_cmp_lg_u32 s12, 0
	v_lshlrev_b32_e32 v0, 2, v7
	s_cselect_b64 s[4:5], -1, 0
	s_cmp_eq_u32 s12, 0
	v_lshl_or_b32 v20, v8, 5, v0
	v_lshlrev_b32_e32 v0, 2, v8
	v_lshl_or_b32 v21, v7, 5, v0
	s_cselect_b64 vcc, -1, 0
	v_mov_b32_e32 v17, 0x100
	v_min_i32_e32 v2, v4, v2
	v_mov_b32_e32 v18, 0x104
	v_cndmask_b32_e32 v0, v8, v7, vcc
	v_cndmask_b32_e32 v9, v7, v8, vcc
	;; [unrolled: 1-line block ×3, first 2 shown]
	s_mul_i32 s11, s15, s15
	v_mov_b32_e32 v23, 1
	s_branch .LBB5_22
.LBB5_21:                               ;   in Loop: Header=BB5_22 Depth=1
	s_or_b64 exec, exec, s[2:3]
	v_cmp_le_i32_e32 vcc, s14, v2
	v_cndmask_b32_e64 v4, 0, 1, vcc
	; wave barrier
	; wave barrier
	ds_write_b32 v17, v4
	s_waitcnt lgkmcnt(0)
	; wave barrier
	ds_read_b32 v4, v16 offset:256
	v_add_u32_e32 v5, 1, v5
	s_waitcnt lgkmcnt(0)
	v_cmp_eq_u32_e32 vcc, 0, v4
	s_cbranch_vccz .LBB5_19
.LBB5_22:                               ; =>This Loop Header: Depth=1
                                        ;     Child Loop BB5_25 Depth 2
                                        ;     Child Loop BB5_40 Depth 2
	v_mov_b32_e32 v6, v2
	v_cmp_lt_i32_e32 vcc, v1, v14
	v_mov_b32_e32 v2, s14
	ds_write_b32 v18, v16
	ds_write_b32 v19, v16
	s_waitcnt lgkmcnt(0)
	; wave barrier
	s_and_saveexec_b64 s[12:13], vcc
	s_cbranch_execz .LBB5_37
; %bb.23:                               ;   in Loop: Header=BB5_22 Depth=1
	v_mul_lo_u32 v2, s15, v1
	s_mov_b64 s[30:31], 0
	v_add_u32_e32 v4, v7, v2
	v_add_u32_e32 v2, v8, v2
	v_mad_u64_u32 v[10:11], s[2:3], s15, v4, v[8:9]
	v_mad_u64_u32 v[11:12], s[2:3], s15, v2, v[7:8]
	v_ashrrev_i32_e32 v2, 31, v1
	v_lshlrev_b64 v[12:13], 2, v[1:2]
	v_mov_b32_e32 v2, s25
	v_add_co_u32_e32 v12, vcc, s24, v12
	v_addc_co_u32_e32 v13, vcc, v2, v13, vcc
	v_mov_b32_e32 v4, 0
	v_mov_b32_e32 v2, s14
	s_branch .LBB5_25
.LBB5_24:                               ;   in Loop: Header=BB5_25 Depth=2
	s_or_b64 exec, exec, s[36:37]
	s_and_b64 s[2:3], exec, s[34:35]
	v_mov_b32_e32 v25, v1
	s_or_b64 s[30:31], s[2:3], s[30:31]
	v_mov_b32_e32 v1, v24
	s_andn2_b64 exec, exec, s[30:31]
	s_cbranch_execz .LBB5_36
.LBB5_25:                               ;   Parent Loop BB5_22 Depth=1
                                        ; =>  This Inner Loop Header: Depth=2
	global_load_dword v24, v[12:13], off
	s_waitcnt vmcnt(0)
	v_subrev_u32_e32 v24, s8, v24
	v_cmp_le_i32_e64 s[2:3], v24, v6
	s_and_saveexec_b64 s[34:35], s[2:3]
	s_xor_b64 s[34:35], exec, s[34:35]
	s_cbranch_execz .LBB5_32
; %bb.26:                               ;   in Loop: Header=BB5_25 Depth=2
	ds_write_b32 v18, v23
	s_and_saveexec_b64 s[36:37], s[0:1]
	s_cbranch_execz .LBB5_31
; %bb.27:                               ;   in Loop: Header=BB5_25 Depth=2
	s_mov_b64 s[38:39], -1
	s_and_b64 vcc, exec, s[4:5]
	s_cbranch_vccz .LBB5_29
; %bb.28:                               ;   in Loop: Header=BB5_25 Depth=2
	v_add_u32_e32 v24, v11, v4
	v_ashrrev_i32_e32 v25, 31, v24
	v_lshlrev_b64 v[24:25], 2, v[24:25]
	v_mov_b32_e32 v26, s27
	v_add_co_u32_e32 v24, vcc, s26, v24
	v_addc_co_u32_e32 v25, vcc, v26, v25, vcc
	global_load_dword v24, v[24:25], off
	s_mov_b64 s[38:39], 0
	s_waitcnt vmcnt(0)
	v_mul_f32_e32 v24, s20, v24
	ds_write_b32 v20, v24
.LBB5_29:                               ;   in Loop: Header=BB5_25 Depth=2
	s_andn2_b64 vcc, exec, s[38:39]
	s_cbranch_vccnz .LBB5_31
; %bb.30:                               ;   in Loop: Header=BB5_25 Depth=2
	v_add_u32_e32 v24, v10, v4
	v_ashrrev_i32_e32 v25, 31, v24
	v_lshlrev_b64 v[24:25], 2, v[24:25]
	v_mov_b32_e32 v26, s27
	v_add_co_u32_e32 v24, vcc, s26, v24
	v_addc_co_u32_e32 v25, vcc, v26, v25, vcc
	global_load_dword v24, v[24:25], off
	s_waitcnt vmcnt(0)
	v_mul_f32_e32 v24, s20, v24
	ds_write_b32 v21, v24
.LBB5_31:                               ;   in Loop: Header=BB5_25 Depth=2
	s_or_b64 exec, exec, s[36:37]
                                        ; implicit-def: $vgpr24
	s_andn2_saveexec_b64 s[34:35], s[34:35]
	s_branch .LBB5_33
.LBB5_32:                               ;   in Loop: Header=BB5_25 Depth=2
	s_andn2_saveexec_b64 s[34:35], s[34:35]
.LBB5_33:                               ;   in Loop: Header=BB5_25 Depth=2
	v_min_i32_e32 v2, v24, v2
; %bb.34:                               ;   in Loop: Header=BB5_25 Depth=2
	s_or_b64 exec, exec, s[34:35]
	s_mov_b64 s[34:35], -1
                                        ; implicit-def: $vgpr24
	s_and_saveexec_b64 s[36:37], s[2:3]
	s_cbranch_execz .LBB5_24
; %bb.35:                               ;   in Loop: Header=BB5_25 Depth=2
	v_add_co_u32_e32 v12, vcc, 4, v12
	v_add_u32_e32 v24, 1, v1
	v_addc_co_u32_e32 v13, vcc, 0, v13, vcc
	v_cmp_ge_i32_e32 vcc, v24, v14
	v_add_u32_e32 v4, s11, v4
	s_orn2_b64 s[34:35], vcc, exec
	v_mov_b32_e32 v1, v14
	s_branch .LBB5_24
.LBB5_36:                               ;   in Loop: Header=BB5_22 Depth=1
	s_or_b64 exec, exec, s[30:31]
	v_mov_b32_e32 v1, v25
.LBB5_37:                               ;   in Loop: Header=BB5_22 Depth=1
	s_or_b64 exec, exec, s[12:13]
	v_cmp_lt_i32_e32 vcc, v3, v15
	s_waitcnt lgkmcnt(0)
	; wave barrier
	s_and_saveexec_b64 s[12:13], vcc
	s_cbranch_execz .LBB5_52
; %bb.38:                               ;   in Loop: Header=BB5_22 Depth=1
	v_mul_lo_u32 v4, s15, v3
	s_mov_b64 s[30:31], 0
	v_add_u32_e32 v10, v7, v4
	v_add_u32_e32 v4, v8, v4
	v_mad_u64_u32 v[10:11], s[2:3], s15, v10, v[8:9]
	v_mad_u64_u32 v[11:12], s[2:3], s15, v4, v[7:8]
	v_ashrrev_i32_e32 v4, 31, v3
	v_lshlrev_b64 v[12:13], 2, v[3:4]
	v_mov_b32_e32 v4, s7
	v_add_co_u32_e32 v12, vcc, s6, v12
	v_addc_co_u32_e32 v13, vcc, v4, v13, vcc
	v_mov_b32_e32 v4, 0
	s_branch .LBB5_40
.LBB5_39:                               ;   in Loop: Header=BB5_40 Depth=2
	s_or_b64 exec, exec, s[36:37]
	s_and_b64 s[2:3], exec, s[34:35]
	v_mov_b32_e32 v25, v3
	s_or_b64 s[30:31], s[2:3], s[30:31]
	v_mov_b32_e32 v3, v24
	s_andn2_b64 exec, exec, s[30:31]
	s_cbranch_execz .LBB5_51
.LBB5_40:                               ;   Parent Loop BB5_22 Depth=1
                                        ; =>  This Inner Loop Header: Depth=2
	global_load_dword v24, v[12:13], off
	s_waitcnt vmcnt(0)
	v_subrev_u32_e32 v24, s9, v24
	v_cmp_le_i32_e64 s[2:3], v24, v6
	s_and_saveexec_b64 s[34:35], s[2:3]
	s_xor_b64 s[34:35], exec, s[34:35]
	s_cbranch_execz .LBB5_47
; %bb.41:                               ;   in Loop: Header=BB5_40 Depth=2
	ds_write_b32 v18, v23
	s_and_saveexec_b64 s[36:37], s[0:1]
	s_cbranch_execz .LBB5_46
; %bb.42:                               ;   in Loop: Header=BB5_40 Depth=2
	s_mov_b64 s[38:39], -1
	s_and_b64 vcc, exec, s[4:5]
	s_cbranch_vccz .LBB5_44
; %bb.43:                               ;   in Loop: Header=BB5_40 Depth=2
	v_add_u32_e32 v24, v11, v4
	v_ashrrev_i32_e32 v25, 31, v24
	v_lshlrev_b64 v[24:25], 2, v[24:25]
	v_mov_b32_e32 v26, s29
	v_add_co_u32_e32 v24, vcc, s28, v24
	v_addc_co_u32_e32 v25, vcc, v26, v25, vcc
	global_load_dword v24, v[24:25], off
	ds_read_b32 v25, v20
	s_mov_b64 s[38:39], 0
	s_waitcnt vmcnt(0) lgkmcnt(0)
	v_fmac_f32_e32 v25, s22, v24
	ds_write_b32 v20, v25
.LBB5_44:                               ;   in Loop: Header=BB5_40 Depth=2
	s_andn2_b64 vcc, exec, s[38:39]
	s_cbranch_vccnz .LBB5_46
; %bb.45:                               ;   in Loop: Header=BB5_40 Depth=2
	v_add_u32_e32 v24, v10, v4
	v_ashrrev_i32_e32 v25, 31, v24
	v_lshlrev_b64 v[24:25], 2, v[24:25]
	v_mov_b32_e32 v26, s29
	v_add_co_u32_e32 v24, vcc, s28, v24
	v_addc_co_u32_e32 v25, vcc, v26, v25, vcc
	global_load_dword v24, v[24:25], off
	ds_read_b32 v25, v21
	s_waitcnt vmcnt(0) lgkmcnt(0)
	v_fmac_f32_e32 v25, s22, v24
	ds_write_b32 v21, v25
.LBB5_46:                               ;   in Loop: Header=BB5_40 Depth=2
	s_or_b64 exec, exec, s[36:37]
                                        ; implicit-def: $vgpr24
	s_andn2_saveexec_b64 s[34:35], s[34:35]
	s_branch .LBB5_48
.LBB5_47:                               ;   in Loop: Header=BB5_40 Depth=2
	s_andn2_saveexec_b64 s[34:35], s[34:35]
.LBB5_48:                               ;   in Loop: Header=BB5_40 Depth=2
	v_min_i32_e32 v2, v24, v2
; %bb.49:                               ;   in Loop: Header=BB5_40 Depth=2
	s_or_b64 exec, exec, s[34:35]
	s_mov_b64 s[34:35], -1
                                        ; implicit-def: $vgpr24
	s_and_saveexec_b64 s[36:37], s[2:3]
	s_cbranch_execz .LBB5_39
; %bb.50:                               ;   in Loop: Header=BB5_40 Depth=2
	v_add_co_u32_e32 v12, vcc, 4, v12
	v_add_u32_e32 v24, 1, v3
	v_addc_co_u32_e32 v13, vcc, 0, v13, vcc
	v_cmp_ge_i32_e32 vcc, v24, v15
	v_add_u32_e32 v4, s11, v4
	s_orn2_b64 s[34:35], vcc, exec
	v_mov_b32_e32 v3, v15
	s_branch .LBB5_39
.LBB5_51:                               ;   in Loop: Header=BB5_22 Depth=1
	s_or_b64 exec, exec, s[30:31]
	v_mov_b32_e32 v3, v25
.LBB5_52:                               ;   in Loop: Header=BB5_22 Depth=1
	s_or_b64 exec, exec, s[12:13]
	s_waitcnt lgkmcnt(0)
	; wave barrier
	ds_read_b32 v4, v18
	s_waitcnt lgkmcnt(0)
	v_cmp_ne_u32_e32 vcc, 0, v4
	s_and_saveexec_b64 s[2:3], vcc
	s_cbranch_execz .LBB5_21
; %bb.53:                               ;   in Loop: Header=BB5_22 Depth=1
	v_add_u32_e32 v4, s10, v6
	v_ashrrev_i32_e32 v6, 31, v5
	v_lshlrev_b64 v[10:11], 2, v[5:6]
	v_mov_b32_e32 v6, s17
	v_add_co_u32_e32 v10, vcc, s16, v10
	v_addc_co_u32_e32 v11, vcc, v6, v11, vcc
	global_store_dword v[10:11], v4, off
	s_and_b64 exec, exec, s[0:1]
	s_cbranch_execz .LBB5_21
; %bb.54:                               ;   in Loop: Header=BB5_22 Depth=1
	v_mad_u64_u32 v[10:11], s[12:13], v5, s15, v[0:1]
	ds_read_b32 v4, v22
	v_mov_b32_e32 v6, s19
	v_mad_u64_u32 v[10:11], s[12:13], v10, s15, v[9:10]
	v_ashrrev_i32_e32 v11, 31, v10
	v_lshlrev_b64 v[10:11], 2, v[10:11]
	v_add_co_u32_e32 v10, vcc, s18, v10
	v_addc_co_u32_e32 v11, vcc, v6, v11, vcc
	s_waitcnt lgkmcnt(0)
	global_store_dword v[10:11], v4, off
	s_branch .LBB5_21
	.section	.rodata,"a",@progbits
	.p2align	6, 0x0
	.amdhsa_kernel _ZN9rocsparseL35bsrgeam_wf_per_row_multipass_kernelILj64ELj8EfEEv20rocsparse_direction_iiiNS_24const_host_device_scalarIT1_EEPKiS6_PKS3_S4_S6_S6_S8_S6_PiPS3_21rocsparse_index_base_SB_SB_b
		.amdhsa_group_segment_fixed_size 264
		.amdhsa_private_segment_fixed_size 0
		.amdhsa_kernarg_size 120
		.amdhsa_user_sgpr_count 6
		.amdhsa_user_sgpr_private_segment_buffer 1
		.amdhsa_user_sgpr_dispatch_ptr 0
		.amdhsa_user_sgpr_queue_ptr 0
		.amdhsa_user_sgpr_kernarg_segment_ptr 1
		.amdhsa_user_sgpr_dispatch_id 0
		.amdhsa_user_sgpr_flat_scratch_init 0
		.amdhsa_user_sgpr_private_segment_size 0
		.amdhsa_uses_dynamic_stack 0
		.amdhsa_system_sgpr_private_segment_wavefront_offset 0
		.amdhsa_system_sgpr_workgroup_id_x 1
		.amdhsa_system_sgpr_workgroup_id_y 0
		.amdhsa_system_sgpr_workgroup_id_z 0
		.amdhsa_system_sgpr_workgroup_info 0
		.amdhsa_system_vgpr_workitem_id 0
		.amdhsa_next_free_vgpr 27
		.amdhsa_next_free_sgpr 40
		.amdhsa_reserve_vcc 1
		.amdhsa_reserve_flat_scratch 0
		.amdhsa_float_round_mode_32 0
		.amdhsa_float_round_mode_16_64 0
		.amdhsa_float_denorm_mode_32 3
		.amdhsa_float_denorm_mode_16_64 3
		.amdhsa_dx10_clamp 1
		.amdhsa_ieee_mode 1
		.amdhsa_fp16_overflow 0
		.amdhsa_exception_fp_ieee_invalid_op 0
		.amdhsa_exception_fp_denorm_src 0
		.amdhsa_exception_fp_ieee_div_zero 0
		.amdhsa_exception_fp_ieee_overflow 0
		.amdhsa_exception_fp_ieee_underflow 0
		.amdhsa_exception_fp_ieee_inexact 0
		.amdhsa_exception_int_div_zero 0
	.end_amdhsa_kernel
	.section	.text._ZN9rocsparseL35bsrgeam_wf_per_row_multipass_kernelILj64ELj8EfEEv20rocsparse_direction_iiiNS_24const_host_device_scalarIT1_EEPKiS6_PKS3_S4_S6_S6_S8_S6_PiPS3_21rocsparse_index_base_SB_SB_b,"axG",@progbits,_ZN9rocsparseL35bsrgeam_wf_per_row_multipass_kernelILj64ELj8EfEEv20rocsparse_direction_iiiNS_24const_host_device_scalarIT1_EEPKiS6_PKS3_S4_S6_S6_S8_S6_PiPS3_21rocsparse_index_base_SB_SB_b,comdat
.Lfunc_end5:
	.size	_ZN9rocsparseL35bsrgeam_wf_per_row_multipass_kernelILj64ELj8EfEEv20rocsparse_direction_iiiNS_24const_host_device_scalarIT1_EEPKiS6_PKS3_S4_S6_S6_S8_S6_PiPS3_21rocsparse_index_base_SB_SB_b, .Lfunc_end5-_ZN9rocsparseL35bsrgeam_wf_per_row_multipass_kernelILj64ELj8EfEEv20rocsparse_direction_iiiNS_24const_host_device_scalarIT1_EEPKiS6_PKS3_S4_S6_S6_S8_S6_PiPS3_21rocsparse_index_base_SB_SB_b
                                        ; -- End function
	.set _ZN9rocsparseL35bsrgeam_wf_per_row_multipass_kernelILj64ELj8EfEEv20rocsparse_direction_iiiNS_24const_host_device_scalarIT1_EEPKiS6_PKS3_S4_S6_S6_S8_S6_PiPS3_21rocsparse_index_base_SB_SB_b.num_vgpr, 27
	.set _ZN9rocsparseL35bsrgeam_wf_per_row_multipass_kernelILj64ELj8EfEEv20rocsparse_direction_iiiNS_24const_host_device_scalarIT1_EEPKiS6_PKS3_S4_S6_S6_S8_S6_PiPS3_21rocsparse_index_base_SB_SB_b.num_agpr, 0
	.set _ZN9rocsparseL35bsrgeam_wf_per_row_multipass_kernelILj64ELj8EfEEv20rocsparse_direction_iiiNS_24const_host_device_scalarIT1_EEPKiS6_PKS3_S4_S6_S6_S8_S6_PiPS3_21rocsparse_index_base_SB_SB_b.numbered_sgpr, 40
	.set _ZN9rocsparseL35bsrgeam_wf_per_row_multipass_kernelILj64ELj8EfEEv20rocsparse_direction_iiiNS_24const_host_device_scalarIT1_EEPKiS6_PKS3_S4_S6_S6_S8_S6_PiPS3_21rocsparse_index_base_SB_SB_b.num_named_barrier, 0
	.set _ZN9rocsparseL35bsrgeam_wf_per_row_multipass_kernelILj64ELj8EfEEv20rocsparse_direction_iiiNS_24const_host_device_scalarIT1_EEPKiS6_PKS3_S4_S6_S6_S8_S6_PiPS3_21rocsparse_index_base_SB_SB_b.private_seg_size, 0
	.set _ZN9rocsparseL35bsrgeam_wf_per_row_multipass_kernelILj64ELj8EfEEv20rocsparse_direction_iiiNS_24const_host_device_scalarIT1_EEPKiS6_PKS3_S4_S6_S6_S8_S6_PiPS3_21rocsparse_index_base_SB_SB_b.uses_vcc, 1
	.set _ZN9rocsparseL35bsrgeam_wf_per_row_multipass_kernelILj64ELj8EfEEv20rocsparse_direction_iiiNS_24const_host_device_scalarIT1_EEPKiS6_PKS3_S4_S6_S6_S8_S6_PiPS3_21rocsparse_index_base_SB_SB_b.uses_flat_scratch, 0
	.set _ZN9rocsparseL35bsrgeam_wf_per_row_multipass_kernelILj64ELj8EfEEv20rocsparse_direction_iiiNS_24const_host_device_scalarIT1_EEPKiS6_PKS3_S4_S6_S6_S8_S6_PiPS3_21rocsparse_index_base_SB_SB_b.has_dyn_sized_stack, 0
	.set _ZN9rocsparseL35bsrgeam_wf_per_row_multipass_kernelILj64ELj8EfEEv20rocsparse_direction_iiiNS_24const_host_device_scalarIT1_EEPKiS6_PKS3_S4_S6_S6_S8_S6_PiPS3_21rocsparse_index_base_SB_SB_b.has_recursion, 0
	.set _ZN9rocsparseL35bsrgeam_wf_per_row_multipass_kernelILj64ELj8EfEEv20rocsparse_direction_iiiNS_24const_host_device_scalarIT1_EEPKiS6_PKS3_S4_S6_S6_S8_S6_PiPS3_21rocsparse_index_base_SB_SB_b.has_indirect_call, 0
	.section	.AMDGPU.csdata,"",@progbits
; Kernel info:
; codeLenInByte = 1748
; TotalNumSgprs: 44
; NumVgprs: 27
; ScratchSize: 0
; MemoryBound: 0
; FloatMode: 240
; IeeeMode: 1
; LDSByteSize: 264 bytes/workgroup (compile time only)
; SGPRBlocks: 5
; VGPRBlocks: 6
; NumSGPRsForWavesPerEU: 44
; NumVGPRsForWavesPerEU: 27
; Occupancy: 9
; WaveLimiterHint : 0
; COMPUTE_PGM_RSRC2:SCRATCH_EN: 0
; COMPUTE_PGM_RSRC2:USER_SGPR: 6
; COMPUTE_PGM_RSRC2:TRAP_HANDLER: 0
; COMPUTE_PGM_RSRC2:TGID_X_EN: 1
; COMPUTE_PGM_RSRC2:TGID_Y_EN: 0
; COMPUTE_PGM_RSRC2:TGID_Z_EN: 0
; COMPUTE_PGM_RSRC2:TIDIG_COMP_CNT: 0
	.section	.text._ZN9rocsparseL39bsrgeam_block_per_row_multipass_kernel2ILj256ELj16EfEEv20rocsparse_direction_iiiNS_24const_host_device_scalarIT1_EEPKiS6_PKS3_S4_S6_S6_S8_S6_PiPS3_21rocsparse_index_base_SB_SB_b,"axG",@progbits,_ZN9rocsparseL39bsrgeam_block_per_row_multipass_kernel2ILj256ELj16EfEEv20rocsparse_direction_iiiNS_24const_host_device_scalarIT1_EEPKiS6_PKS3_S4_S6_S6_S8_S6_PiPS3_21rocsparse_index_base_SB_SB_b,comdat
	.globl	_ZN9rocsparseL39bsrgeam_block_per_row_multipass_kernel2ILj256ELj16EfEEv20rocsparse_direction_iiiNS_24const_host_device_scalarIT1_EEPKiS6_PKS3_S4_S6_S6_S8_S6_PiPS3_21rocsparse_index_base_SB_SB_b ; -- Begin function _ZN9rocsparseL39bsrgeam_block_per_row_multipass_kernel2ILj256ELj16EfEEv20rocsparse_direction_iiiNS_24const_host_device_scalarIT1_EEPKiS6_PKS3_S4_S6_S6_S8_S6_PiPS3_21rocsparse_index_base_SB_SB_b
	.p2align	8
	.type	_ZN9rocsparseL39bsrgeam_block_per_row_multipass_kernel2ILj256ELj16EfEEv20rocsparse_direction_iiiNS_24const_host_device_scalarIT1_EEPKiS6_PKS3_S4_S6_S6_S8_S6_PiPS3_21rocsparse_index_base_SB_SB_b,@function
_ZN9rocsparseL39bsrgeam_block_per_row_multipass_kernel2ILj256ELj16EfEEv20rocsparse_direction_iiiNS_24const_host_device_scalarIT1_EEPKiS6_PKS3_S4_S6_S6_S8_S6_PiPS3_21rocsparse_index_base_SB_SB_b: ; @_ZN9rocsparseL39bsrgeam_block_per_row_multipass_kernel2ILj256ELj16EfEEv20rocsparse_direction_iiiNS_24const_host_device_scalarIT1_EEPKiS6_PKS3_S4_S6_S6_S8_S6_PiPS3_21rocsparse_index_base_SB_SB_b
; %bb.0:
	s_load_dwordx4 s[8:11], s[4:5], 0x68
	s_load_dwordx2 s[20:21], s[4:5], 0x50
	s_load_dwordx4 s[12:15], s[4:5], 0x10
	s_load_dwordx4 s[16:19], s[4:5], 0x30
	s_waitcnt lgkmcnt(0)
	s_bitcmp1_b32 s11, 0
	s_cselect_b64 s[2:3], -1, 0
	s_xor_b64 s[0:1], s[2:3], -1
	s_and_b64 vcc, exec, s[2:3]
	s_cbranch_vccnz .LBB6_2
; %bb.1:
	s_load_dword s12, s[12:13], 0x0
.LBB6_2:
	s_nop 0
	s_load_dwordx2 s[2:3], s[4:5], 0x20
	s_andn2_b64 vcc, exec, s[0:1]
	s_cbranch_vccnz .LBB6_4
; %bb.3:
	s_load_dword s16, s[16:17], 0x0
.LBB6_4:
	s_ashr_i32 s7, s6, 31
	s_lshl_b64 s[22:23], s[6:7], 2
	s_add_u32 s24, s14, s22
	s_addc_u32 s25, s15, s23
	s_load_dwordx2 s[0:1], s[24:25], 0x0
	s_load_dwordx2 s[6:7], s[4:5], 0x40
	;; [unrolled: 1-line block ×3, first 2 shown]
	s_waitcnt lgkmcnt(0)
	s_sub_i32 s24, s0, s8
	s_add_u32 s18, s18, s22
	s_addc_u32 s19, s19, s23
	s_load_dwordx2 s[30:31], s[18:19], 0x0
	s_add_u32 s28, s20, s22
	s_addc_u32 s29, s21, s23
	s_cmp_ge_i32 s0, s1
	s_mov_b32 s0, s14
	s_cbranch_scc1 .LBB6_6
; %bb.5:
	s_ashr_i32 s25, s24, 31
	s_lshl_b64 s[18:19], s[24:25], 2
	s_add_u32 s18, s2, s18
	s_addc_u32 s19, s3, s19
	s_load_dword s0, s[18:19], 0x0
	s_waitcnt lgkmcnt(0)
	s_sub_i32 s0, s0, s8
.LBB6_6:
	s_load_dwordx4 s[20:23], s[4:5], 0x58
	s_load_dwordx2 s[18:19], s[4:5], 0x28
	s_load_dwordx2 s[26:27], s[4:5], 0x48
	s_load_dword s17, s[28:29], 0x0
	s_waitcnt lgkmcnt(0)
	s_sub_i32 s28, s30, s9
	s_cmp_ge_i32 s30, s31
	s_mov_b32 s25, s14
	s_cbranch_scc1 .LBB6_8
; %bb.7:
	s_ashr_i32 s29, s28, 31
	s_lshl_b64 s[34:35], s[28:29], 2
	s_add_u32 s34, s6, s34
	s_addc_u32 s35, s7, s35
	s_load_dword s11, s[34:35], 0x0
	s_waitcnt lgkmcnt(0)
	s_sub_i32 s25, s11, s9
.LBB6_8:
	s_load_dword s4, s[4:5], 0x0
	v_and_b32_e32 v1, 15, v0
	v_lshrrev_b32_e32 v2, 4, v0
	s_sub_i32 s11, s1, s8
	s_sub_i32 s13, s31, s9
	s_min_i32 s31, s25, s0
	v_cmp_gt_u32_e32 vcc, s15, v1
	v_cmp_gt_i32_e64 s[0:1], s15, v2
	s_sub_i32 s30, s17, s10
	s_and_b64 s[0:1], vcc, s[0:1]
	v_lshlrev_b32_e32 v3, 2, v2
	s_waitcnt lgkmcnt(0)
	s_cmp_lg_u32 s4, 0
	v_lshlrev_b32_e32 v5, 6, v1
	v_lshlrev_b32_e32 v0, 2, v0
	s_cselect_b64 s[4:5], -1, 0
	s_mul_i32 s17, s15, s15
	v_mov_b32_e32 v4, 0
	v_mov_b32_e32 v8, 1
	v_add_u32_e32 v9, v3, v5
	s_branch .LBB6_11
.LBB6_9:                                ;   in Loop: Header=BB6_11 Depth=1
	s_or_b64 exec, exec, s[34:35]
.LBB6_10:                               ;   in Loop: Header=BB6_11 Depth=1
	s_waitcnt vmcnt(0)
	s_barrier
	ds_read_b32 v3, v4 offset:1024
	s_mov_b32 s31, s29
	s_waitcnt lgkmcnt(0)
	s_barrier
	v_readfirstlane_b32 s25, v3
	s_add_i32 s30, s25, s30
	s_cmp_lt_i32 s29, s14
	s_cbranch_scc0 .LBB6_49
.LBB6_11:                               ; =>This Loop Header: Depth=1
                                        ;     Child Loop BB6_13 Depth 2
                                        ;     Child Loop BB6_29 Depth 2
	s_cmp_ge_i32 s24, s11
	ds_write_b32 v4, v4 offset:1024
	ds_write_b32 v0, v4
	s_waitcnt lgkmcnt(0)
	s_barrier
	s_cbranch_scc1 .LBB6_26
; %bb.12:                               ;   in Loop: Header=BB6_11 Depth=1
	s_mul_i32 s25, s15, s24
	v_add_u32_e32 v3, s25, v2
	v_mad_u64_u32 v[5:6], s[34:35], s15, v3, v[1:2]
	v_add_u32_e32 v3, s25, v1
	v_mad_u64_u32 v[6:7], s[34:35], s15, v3, v[2:3]
	s_ashr_i32 s25, s24, 31
	s_lshl_b64 s[34:35], s[24:25], 2
	s_add_u32 s34, s2, s34
	s_addc_u32 s35, s3, s35
	s_mov_b32 s29, 0
	s_mov_b32 s33, s14
.LBB6_13:                               ;   Parent Loop BB6_11 Depth=1
                                        ; =>  This Inner Loop Header: Depth=2
	s_load_dword s25, s[34:35], 0x0
	s_mov_b64 s[38:39], -1
	s_waitcnt lgkmcnt(0)
	s_sub_i32 s40, s25, s8
	s_cmp_eq_u32 s40, s31
	s_cselect_b64 s[36:37], -1, 0
	s_cmp_lg_u32 s40, s31
                                        ; implicit-def: $sgpr25
	s_cbranch_scc1 .LBB6_17
; %bb.14:                               ;   in Loop: Header=BB6_13 Depth=2
	s_andn2_b64 vcc, exec, s[38:39]
	s_cbranch_vccz .LBB6_18
.LBB6_15:                               ;   in Loop: Header=BB6_13 Depth=2
	s_andn2_b64 vcc, exec, s[36:37]
	s_mov_b64 s[36:37], -1
	s_cbranch_vccnz .LBB6_23
.LBB6_16:                               ;   in Loop: Header=BB6_13 Depth=2
	s_add_i32 s24, s24, 1
	s_add_i32 s29, s29, s17
	s_add_u32 s34, s34, 4
	s_addc_u32 s35, s35, 0
	s_cmp_ge_i32 s24, s11
	s_cselect_b64 s[36:37], -1, 0
	s_andn2_b64 vcc, exec, s[36:37]
	s_cbranch_vccnz .LBB6_24
	s_branch .LBB6_27
.LBB6_17:                               ;   in Loop: Header=BB6_13 Depth=2
	s_min_i32 s25, s40, s33
	s_cbranch_execnz .LBB6_15
.LBB6_18:                               ;   in Loop: Header=BB6_13 Depth=2
	ds_write_b32 v4, v8 offset:1024
	s_and_saveexec_b64 s[38:39], s[0:1]
	s_cbranch_execz .LBB6_22
; %bb.19:                               ;   in Loop: Header=BB6_13 Depth=2
	s_and_b64 vcc, exec, s[4:5]
	s_cbranch_vccz .LBB6_25
; %bb.20:                               ;   in Loop: Header=BB6_13 Depth=2
	v_add_u32_e32 v3, s29, v6
	v_lshlrev_b64 v[10:11], 2, v[3:4]
	v_mov_b32_e32 v3, s19
	v_add_co_u32_e32 v10, vcc, s18, v10
	v_addc_co_u32_e32 v11, vcc, v3, v11, vcc
	global_load_dword v3, v[10:11], off
	s_waitcnt vmcnt(0)
	v_mul_f32_e32 v3, s12, v3
	ds_write_b32 v9, v3
	s_cbranch_execnz .LBB6_22
.LBB6_21:                               ;   in Loop: Header=BB6_13 Depth=2
	v_add_u32_e32 v3, s29, v5
	v_lshlrev_b64 v[10:11], 2, v[3:4]
	v_mov_b32_e32 v3, s19
	v_add_co_u32_e32 v10, vcc, s18, v10
	v_addc_co_u32_e32 v11, vcc, v3, v11, vcc
	global_load_dword v3, v[10:11], off
	s_waitcnt vmcnt(0)
	v_mul_f32_e32 v3, s12, v3
	ds_write_b32 v0, v3
.LBB6_22:                               ;   in Loop: Header=BB6_13 Depth=2
	s_or_b64 exec, exec, s[38:39]
	s_mov_b32 s25, s33
	s_andn2_b64 vcc, exec, s[36:37]
	s_mov_b64 s[36:37], -1
	s_cbranch_vccz .LBB6_16
.LBB6_23:                               ;   in Loop: Header=BB6_13 Depth=2
                                        ; implicit-def: $sgpr29
                                        ; implicit-def: $sgpr34_sgpr35
	s_andn2_b64 vcc, exec, s[36:37]
	s_cbranch_vccz .LBB6_27
.LBB6_24:                               ;   in Loop: Header=BB6_13 Depth=2
	s_mov_b32 s33, s25
	s_branch .LBB6_13
.LBB6_25:                               ;   in Loop: Header=BB6_13 Depth=2
	s_branch .LBB6_21
.LBB6_26:                               ;   in Loop: Header=BB6_11 Depth=1
	s_mov_b32 s25, s14
.LBB6_27:                               ;   in Loop: Header=BB6_11 Depth=1
	s_cmp_ge_i32 s28, s13
	s_waitcnt lgkmcnt(0)
	s_barrier
	s_cbranch_scc1 .LBB6_42
; %bb.28:                               ;   in Loop: Header=BB6_11 Depth=1
	s_mul_i32 s29, s15, s28
	v_add_u32_e32 v3, s29, v2
	v_mad_u64_u32 v[5:6], s[34:35], s15, v3, v[1:2]
	v_add_u32_e32 v3, s29, v1
	v_mad_u64_u32 v[6:7], s[34:35], s15, v3, v[2:3]
	s_ashr_i32 s29, s28, 31
	s_lshl_b64 s[34:35], s[28:29], 2
	s_add_u32 s34, s6, s34
	s_addc_u32 s35, s7, s35
	s_mov_b32 s33, 0
.LBB6_29:                               ;   Parent Loop BB6_11 Depth=1
                                        ; =>  This Inner Loop Header: Depth=2
	s_load_dword s29, s[34:35], 0x0
	s_mov_b64 s[38:39], -1
	s_waitcnt lgkmcnt(0)
	s_sub_i32 s40, s29, s9
	s_cmp_eq_u32 s40, s31
	s_cselect_b64 s[36:37], -1, 0
	s_cmp_lg_u32 s40, s31
                                        ; implicit-def: $sgpr29
	s_cbranch_scc1 .LBB6_33
; %bb.30:                               ;   in Loop: Header=BB6_29 Depth=2
	s_andn2_b64 vcc, exec, s[38:39]
	s_cbranch_vccz .LBB6_34
.LBB6_31:                               ;   in Loop: Header=BB6_29 Depth=2
	s_andn2_b64 vcc, exec, s[36:37]
	s_mov_b64 s[36:37], -1
	s_cbranch_vccnz .LBB6_39
.LBB6_32:                               ;   in Loop: Header=BB6_29 Depth=2
	s_add_i32 s28, s28, 1
	s_add_i32 s33, s33, s17
	s_add_u32 s34, s34, 4
	s_addc_u32 s35, s35, 0
	s_cmp_ge_i32 s28, s13
	s_cselect_b64 s[36:37], -1, 0
	s_andn2_b64 vcc, exec, s[36:37]
	s_cbranch_vccnz .LBB6_40
	s_branch .LBB6_43
.LBB6_33:                               ;   in Loop: Header=BB6_29 Depth=2
	s_min_i32 s29, s40, s25
	s_cbranch_execnz .LBB6_31
.LBB6_34:                               ;   in Loop: Header=BB6_29 Depth=2
	ds_write_b32 v4, v8 offset:1024
	s_and_saveexec_b64 s[38:39], s[0:1]
	s_cbranch_execz .LBB6_38
; %bb.35:                               ;   in Loop: Header=BB6_29 Depth=2
	s_and_b64 vcc, exec, s[4:5]
	s_cbranch_vccz .LBB6_41
; %bb.36:                               ;   in Loop: Header=BB6_29 Depth=2
	v_add_u32_e32 v3, s33, v6
	v_lshlrev_b64 v[10:11], 2, v[3:4]
	v_mov_b32_e32 v3, s27
	v_add_co_u32_e32 v10, vcc, s26, v10
	v_addc_co_u32_e32 v11, vcc, v3, v11, vcc
	global_load_dword v3, v[10:11], off
	ds_read_b32 v7, v9
	s_waitcnt vmcnt(0) lgkmcnt(0)
	v_fmac_f32_e32 v7, s16, v3
	ds_write_b32 v9, v7
	s_cbranch_execnz .LBB6_38
.LBB6_37:                               ;   in Loop: Header=BB6_29 Depth=2
	v_add_u32_e32 v3, s33, v5
	v_lshlrev_b64 v[10:11], 2, v[3:4]
	v_mov_b32_e32 v3, s27
	v_add_co_u32_e32 v10, vcc, s26, v10
	v_addc_co_u32_e32 v11, vcc, v3, v11, vcc
	global_load_dword v3, v[10:11], off
	ds_read_b32 v7, v0
	s_waitcnt vmcnt(0) lgkmcnt(0)
	v_fmac_f32_e32 v7, s16, v3
	ds_write_b32 v0, v7
.LBB6_38:                               ;   in Loop: Header=BB6_29 Depth=2
	s_or_b64 exec, exec, s[38:39]
	s_mov_b32 s29, s25
	s_andn2_b64 vcc, exec, s[36:37]
	s_mov_b64 s[36:37], -1
	s_cbranch_vccz .LBB6_32
.LBB6_39:                               ;   in Loop: Header=BB6_29 Depth=2
                                        ; implicit-def: $sgpr33
                                        ; implicit-def: $sgpr34_sgpr35
	s_andn2_b64 vcc, exec, s[36:37]
	s_cbranch_vccz .LBB6_43
.LBB6_40:                               ;   in Loop: Header=BB6_29 Depth=2
	s_mov_b32 s25, s29
	s_branch .LBB6_29
.LBB6_41:                               ;   in Loop: Header=BB6_29 Depth=2
	s_branch .LBB6_37
.LBB6_42:                               ;   in Loop: Header=BB6_11 Depth=1
	s_mov_b32 s29, s25
.LBB6_43:                               ;   in Loop: Header=BB6_11 Depth=1
	s_waitcnt lgkmcnt(0)
	s_barrier
	ds_read_b32 v3, v4 offset:1024
	s_waitcnt lgkmcnt(0)
	v_cmp_eq_u32_e32 vcc, 0, v3
	s_cbranch_vccnz .LBB6_10
; %bb.44:                               ;   in Loop: Header=BB6_11 Depth=1
	s_add_i32 s25, s31, s10
	s_ashr_i32 s31, s30, 31
	s_lshl_b64 s[34:35], s[30:31], 2
	s_add_u32 s34, s20, s34
	s_addc_u32 s35, s21, s35
	v_mov_b32_e32 v3, s25
	global_store_dword v4, v3, s[34:35]
	s_and_saveexec_b64 s[34:35], s[0:1]
	s_cbranch_execz .LBB6_9
; %bb.45:                               ;   in Loop: Header=BB6_11 Depth=1
	s_mul_i32 s25, s30, s15
	s_and_b64 vcc, exec, s[4:5]
	s_cbranch_vccz .LBB6_47
; %bb.46:                               ;   in Loop: Header=BB6_11 Depth=1
	v_add_u32_e32 v3, s25, v1
	v_mad_u64_u32 v[5:6], s[36:37], v3, s15, v[2:3]
	v_mov_b32_e32 v6, v4
	ds_read_b32 v7, v9
	v_lshlrev_b64 v[5:6], 2, v[5:6]
	v_mov_b32_e32 v3, s23
	v_add_co_u32_e32 v5, vcc, s22, v5
	v_addc_co_u32_e32 v6, vcc, v3, v6, vcc
	s_waitcnt lgkmcnt(0)
	global_store_dword v[5:6], v7, off
	s_cbranch_execnz .LBB6_9
	s_branch .LBB6_48
.LBB6_47:                               ;   in Loop: Header=BB6_11 Depth=1
.LBB6_48:                               ;   in Loop: Header=BB6_11 Depth=1
	v_add_u32_e32 v3, s25, v2
	v_mad_u64_u32 v[5:6], s[36:37], v3, s15, v[1:2]
	v_mov_b32_e32 v6, v4
	ds_read_b32 v7, v0
	v_lshlrev_b64 v[5:6], 2, v[5:6]
	v_mov_b32_e32 v3, s23
	v_add_co_u32_e32 v5, vcc, s22, v5
	v_addc_co_u32_e32 v6, vcc, v3, v6, vcc
	s_waitcnt lgkmcnt(0)
	global_store_dword v[5:6], v7, off
	s_branch .LBB6_9
.LBB6_49:
	s_endpgm
	.section	.rodata,"a",@progbits
	.p2align	6, 0x0
	.amdhsa_kernel _ZN9rocsparseL39bsrgeam_block_per_row_multipass_kernel2ILj256ELj16EfEEv20rocsparse_direction_iiiNS_24const_host_device_scalarIT1_EEPKiS6_PKS3_S4_S6_S6_S8_S6_PiPS3_21rocsparse_index_base_SB_SB_b
		.amdhsa_group_segment_fixed_size 1028
		.amdhsa_private_segment_fixed_size 0
		.amdhsa_kernarg_size 120
		.amdhsa_user_sgpr_count 6
		.amdhsa_user_sgpr_private_segment_buffer 1
		.amdhsa_user_sgpr_dispatch_ptr 0
		.amdhsa_user_sgpr_queue_ptr 0
		.amdhsa_user_sgpr_kernarg_segment_ptr 1
		.amdhsa_user_sgpr_dispatch_id 0
		.amdhsa_user_sgpr_flat_scratch_init 0
		.amdhsa_user_sgpr_private_segment_size 0
		.amdhsa_uses_dynamic_stack 0
		.amdhsa_system_sgpr_private_segment_wavefront_offset 0
		.amdhsa_system_sgpr_workgroup_id_x 1
		.amdhsa_system_sgpr_workgroup_id_y 0
		.amdhsa_system_sgpr_workgroup_id_z 0
		.amdhsa_system_sgpr_workgroup_info 0
		.amdhsa_system_vgpr_workitem_id 0
		.amdhsa_next_free_vgpr 12
		.amdhsa_next_free_sgpr 41
		.amdhsa_reserve_vcc 1
		.amdhsa_reserve_flat_scratch 0
		.amdhsa_float_round_mode_32 0
		.amdhsa_float_round_mode_16_64 0
		.amdhsa_float_denorm_mode_32 3
		.amdhsa_float_denorm_mode_16_64 3
		.amdhsa_dx10_clamp 1
		.amdhsa_ieee_mode 1
		.amdhsa_fp16_overflow 0
		.amdhsa_exception_fp_ieee_invalid_op 0
		.amdhsa_exception_fp_denorm_src 0
		.amdhsa_exception_fp_ieee_div_zero 0
		.amdhsa_exception_fp_ieee_overflow 0
		.amdhsa_exception_fp_ieee_underflow 0
		.amdhsa_exception_fp_ieee_inexact 0
		.amdhsa_exception_int_div_zero 0
	.end_amdhsa_kernel
	.section	.text._ZN9rocsparseL39bsrgeam_block_per_row_multipass_kernel2ILj256ELj16EfEEv20rocsparse_direction_iiiNS_24const_host_device_scalarIT1_EEPKiS6_PKS3_S4_S6_S6_S8_S6_PiPS3_21rocsparse_index_base_SB_SB_b,"axG",@progbits,_ZN9rocsparseL39bsrgeam_block_per_row_multipass_kernel2ILj256ELj16EfEEv20rocsparse_direction_iiiNS_24const_host_device_scalarIT1_EEPKiS6_PKS3_S4_S6_S6_S8_S6_PiPS3_21rocsparse_index_base_SB_SB_b,comdat
.Lfunc_end6:
	.size	_ZN9rocsparseL39bsrgeam_block_per_row_multipass_kernel2ILj256ELj16EfEEv20rocsparse_direction_iiiNS_24const_host_device_scalarIT1_EEPKiS6_PKS3_S4_S6_S6_S8_S6_PiPS3_21rocsparse_index_base_SB_SB_b, .Lfunc_end6-_ZN9rocsparseL39bsrgeam_block_per_row_multipass_kernel2ILj256ELj16EfEEv20rocsparse_direction_iiiNS_24const_host_device_scalarIT1_EEPKiS6_PKS3_S4_S6_S6_S8_S6_PiPS3_21rocsparse_index_base_SB_SB_b
                                        ; -- End function
	.set _ZN9rocsparseL39bsrgeam_block_per_row_multipass_kernel2ILj256ELj16EfEEv20rocsparse_direction_iiiNS_24const_host_device_scalarIT1_EEPKiS6_PKS3_S4_S6_S6_S8_S6_PiPS3_21rocsparse_index_base_SB_SB_b.num_vgpr, 12
	.set _ZN9rocsparseL39bsrgeam_block_per_row_multipass_kernel2ILj256ELj16EfEEv20rocsparse_direction_iiiNS_24const_host_device_scalarIT1_EEPKiS6_PKS3_S4_S6_S6_S8_S6_PiPS3_21rocsparse_index_base_SB_SB_b.num_agpr, 0
	.set _ZN9rocsparseL39bsrgeam_block_per_row_multipass_kernel2ILj256ELj16EfEEv20rocsparse_direction_iiiNS_24const_host_device_scalarIT1_EEPKiS6_PKS3_S4_S6_S6_S8_S6_PiPS3_21rocsparse_index_base_SB_SB_b.numbered_sgpr, 41
	.set _ZN9rocsparseL39bsrgeam_block_per_row_multipass_kernel2ILj256ELj16EfEEv20rocsparse_direction_iiiNS_24const_host_device_scalarIT1_EEPKiS6_PKS3_S4_S6_S6_S8_S6_PiPS3_21rocsparse_index_base_SB_SB_b.num_named_barrier, 0
	.set _ZN9rocsparseL39bsrgeam_block_per_row_multipass_kernel2ILj256ELj16EfEEv20rocsparse_direction_iiiNS_24const_host_device_scalarIT1_EEPKiS6_PKS3_S4_S6_S6_S8_S6_PiPS3_21rocsparse_index_base_SB_SB_b.private_seg_size, 0
	.set _ZN9rocsparseL39bsrgeam_block_per_row_multipass_kernel2ILj256ELj16EfEEv20rocsparse_direction_iiiNS_24const_host_device_scalarIT1_EEPKiS6_PKS3_S4_S6_S6_S8_S6_PiPS3_21rocsparse_index_base_SB_SB_b.uses_vcc, 1
	.set _ZN9rocsparseL39bsrgeam_block_per_row_multipass_kernel2ILj256ELj16EfEEv20rocsparse_direction_iiiNS_24const_host_device_scalarIT1_EEPKiS6_PKS3_S4_S6_S6_S8_S6_PiPS3_21rocsparse_index_base_SB_SB_b.uses_flat_scratch, 0
	.set _ZN9rocsparseL39bsrgeam_block_per_row_multipass_kernel2ILj256ELj16EfEEv20rocsparse_direction_iiiNS_24const_host_device_scalarIT1_EEPKiS6_PKS3_S4_S6_S6_S8_S6_PiPS3_21rocsparse_index_base_SB_SB_b.has_dyn_sized_stack, 0
	.set _ZN9rocsparseL39bsrgeam_block_per_row_multipass_kernel2ILj256ELj16EfEEv20rocsparse_direction_iiiNS_24const_host_device_scalarIT1_EEPKiS6_PKS3_S4_S6_S6_S8_S6_PiPS3_21rocsparse_index_base_SB_SB_b.has_recursion, 0
	.set _ZN9rocsparseL39bsrgeam_block_per_row_multipass_kernel2ILj256ELj16EfEEv20rocsparse_direction_iiiNS_24const_host_device_scalarIT1_EEPKiS6_PKS3_S4_S6_S6_S8_S6_PiPS3_21rocsparse_index_base_SB_SB_b.has_indirect_call, 0
	.section	.AMDGPU.csdata,"",@progbits
; Kernel info:
; codeLenInByte = 1340
; TotalNumSgprs: 45
; NumVgprs: 12
; ScratchSize: 0
; MemoryBound: 0
; FloatMode: 240
; IeeeMode: 1
; LDSByteSize: 1028 bytes/workgroup (compile time only)
; SGPRBlocks: 5
; VGPRBlocks: 2
; NumSGPRsForWavesPerEU: 45
; NumVGPRsForWavesPerEU: 12
; Occupancy: 10
; WaveLimiterHint : 1
; COMPUTE_PGM_RSRC2:SCRATCH_EN: 0
; COMPUTE_PGM_RSRC2:USER_SGPR: 6
; COMPUTE_PGM_RSRC2:TRAP_HANDLER: 0
; COMPUTE_PGM_RSRC2:TGID_X_EN: 1
; COMPUTE_PGM_RSRC2:TGID_Y_EN: 0
; COMPUTE_PGM_RSRC2:TGID_Z_EN: 0
; COMPUTE_PGM_RSRC2:TIDIG_COMP_CNT: 0
	.section	.text._ZN9rocsparseL39bsrgeam_block_per_row_multipass_kernel2ILj256ELj32EfEEv20rocsparse_direction_iiiNS_24const_host_device_scalarIT1_EEPKiS6_PKS3_S4_S6_S6_S8_S6_PiPS3_21rocsparse_index_base_SB_SB_b,"axG",@progbits,_ZN9rocsparseL39bsrgeam_block_per_row_multipass_kernel2ILj256ELj32EfEEv20rocsparse_direction_iiiNS_24const_host_device_scalarIT1_EEPKiS6_PKS3_S4_S6_S6_S8_S6_PiPS3_21rocsparse_index_base_SB_SB_b,comdat
	.globl	_ZN9rocsparseL39bsrgeam_block_per_row_multipass_kernel2ILj256ELj32EfEEv20rocsparse_direction_iiiNS_24const_host_device_scalarIT1_EEPKiS6_PKS3_S4_S6_S6_S8_S6_PiPS3_21rocsparse_index_base_SB_SB_b ; -- Begin function _ZN9rocsparseL39bsrgeam_block_per_row_multipass_kernel2ILj256ELj32EfEEv20rocsparse_direction_iiiNS_24const_host_device_scalarIT1_EEPKiS6_PKS3_S4_S6_S6_S8_S6_PiPS3_21rocsparse_index_base_SB_SB_b
	.p2align	8
	.type	_ZN9rocsparseL39bsrgeam_block_per_row_multipass_kernel2ILj256ELj32EfEEv20rocsparse_direction_iiiNS_24const_host_device_scalarIT1_EEPKiS6_PKS3_S4_S6_S6_S8_S6_PiPS3_21rocsparse_index_base_SB_SB_b,@function
_ZN9rocsparseL39bsrgeam_block_per_row_multipass_kernel2ILj256ELj32EfEEv20rocsparse_direction_iiiNS_24const_host_device_scalarIT1_EEPKiS6_PKS3_S4_S6_S6_S8_S6_PiPS3_21rocsparse_index_base_SB_SB_b: ; @_ZN9rocsparseL39bsrgeam_block_per_row_multipass_kernel2ILj256ELj32EfEEv20rocsparse_direction_iiiNS_24const_host_device_scalarIT1_EEPKiS6_PKS3_S4_S6_S6_S8_S6_PiPS3_21rocsparse_index_base_SB_SB_b
; %bb.0:
	s_load_dwordx4 s[8:11], s[4:5], 0x68
	s_load_dwordx2 s[20:21], s[4:5], 0x50
	s_load_dwordx4 s[12:15], s[4:5], 0x10
	s_load_dwordx4 s[16:19], s[4:5], 0x30
	s_waitcnt lgkmcnt(0)
	s_bitcmp1_b32 s11, 0
	s_cselect_b64 s[2:3], -1, 0
	s_xor_b64 s[0:1], s[2:3], -1
	s_and_b64 vcc, exec, s[2:3]
	s_cbranch_vccnz .LBB7_2
; %bb.1:
	s_load_dword s12, s[12:13], 0x0
.LBB7_2:
	s_nop 0
	s_load_dwordx2 s[2:3], s[4:5], 0x20
	s_andn2_b64 vcc, exec, s[0:1]
	s_cbranch_vccnz .LBB7_4
; %bb.3:
	s_load_dword s16, s[16:17], 0x0
.LBB7_4:
	s_ashr_i32 s7, s6, 31
	s_lshl_b64 s[22:23], s[6:7], 2
	s_add_u32 s24, s14, s22
	s_addc_u32 s25, s15, s23
	s_load_dwordx2 s[0:1], s[24:25], 0x0
	s_load_dwordx2 s[6:7], s[4:5], 0x40
	;; [unrolled: 1-line block ×3, first 2 shown]
	s_waitcnt lgkmcnt(0)
	s_sub_i32 s24, s0, s8
	s_add_u32 s18, s18, s22
	s_addc_u32 s19, s19, s23
	s_load_dwordx2 s[30:31], s[18:19], 0x0
	s_add_u32 s28, s20, s22
	s_addc_u32 s29, s21, s23
	s_cmp_ge_i32 s0, s1
	s_mov_b32 s0, s14
	s_cbranch_scc1 .LBB7_6
; %bb.5:
	s_ashr_i32 s25, s24, 31
	s_lshl_b64 s[18:19], s[24:25], 2
	s_add_u32 s18, s2, s18
	s_addc_u32 s19, s3, s19
	s_load_dword s0, s[18:19], 0x0
	s_waitcnt lgkmcnt(0)
	s_sub_i32 s0, s0, s8
.LBB7_6:
	s_load_dwordx4 s[20:23], s[4:5], 0x58
	s_load_dwordx2 s[18:19], s[4:5], 0x28
	s_load_dwordx2 s[26:27], s[4:5], 0x48
	s_load_dword s17, s[28:29], 0x0
	s_waitcnt lgkmcnt(0)
	s_sub_i32 s28, s30, s9
	s_cmp_ge_i32 s30, s31
	s_mov_b32 s25, s14
	s_cbranch_scc1 .LBB7_8
; %bb.7:
	s_ashr_i32 s29, s28, 31
	s_lshl_b64 s[34:35], s[28:29], 2
	s_add_u32 s34, s6, s34
	s_addc_u32 s35, s7, s35
	s_load_dword s11, s[34:35], 0x0
	s_waitcnt lgkmcnt(0)
	s_sub_i32 s25, s11, s9
.LBB7_8:
	s_sub_i32 s11, s1, s8
	s_load_dword s1, s[4:5], 0x0
	v_and_b32_e32 v1, 7, v0
	v_lshrrev_b32_e32 v0, 3, v0
	s_sub_i32 s13, s31, s9
	s_sub_i32 s30, s17, s10
	s_min_i32 s31, s25, s0
	v_lshlrev_b32_e32 v2, 7, v0
	s_movk_i32 s0, 0xff84
	v_lshl_or_b32 v10, v1, 2, v2
	v_cmp_gt_i32_e32 vcc, s15, v0
	v_mad_i32_i24 v2, v0, s0, v2
	s_waitcnt lgkmcnt(0)
	s_cmp_lg_u32 s1, 0
	v_cmp_gt_u32_e64 s[0:1], s15, v1
	v_or_b32_e32 v15, 8, v1
	s_cselect_b64 s[4:5], -1, 0
	s_and_b64 s[34:35], vcc, s[0:1]
	v_cmp_gt_u32_e64 s[0:1], s15, v15
	v_or_b32_e32 v17, 16, v1
	s_and_b64 s[36:37], vcc, s[0:1]
	v_cmp_gt_u32_e64 s[0:1], s15, v17
	v_or_b32_e32 v19, 24, v1
	v_lshl_add_u32 v14, v1, 7, v2
	v_lshl_add_u32 v16, v15, 7, v2
	s_and_b64 s[38:39], vcc, s[0:1]
	v_lshl_add_u32 v18, v17, 7, v2
	v_cmp_gt_u32_e64 s[0:1], s15, v19
	v_lshl_add_u32 v20, v19, 7, v2
	v_cndmask_b32_e64 v2, 0, 1, s[4:5]
	v_or_b32_e32 v11, 32, v10
	v_or_b32_e32 v12, 64, v10
	;; [unrolled: 1-line block ×3, first 2 shown]
	s_and_b64 s[40:41], vcc, s[0:1]
	s_mul_i32 s17, s15, s15
	v_mov_b32_e32 v3, 0
	v_mov_b32_e32 v21, 1
	v_cmp_ne_u32_e64 s[0:1], 1, v2
	s_branch .LBB7_12
.LBB7_9:                                ;   in Loop: Header=BB7_12 Depth=1
	ds_read_b32 v6, v5
	v_lshlrev_b64 v[4:5], 2, v[2:3]
	v_mov_b32_e32 v2, s23
	v_add_co_u32_e32 v4, vcc, s22, v4
	v_addc_co_u32_e32 v5, vcc, v2, v5, vcc
	s_waitcnt lgkmcnt(0)
	global_store_dword v[4:5], v6, off
.LBB7_10:                               ;   in Loop: Header=BB7_12 Depth=1
	s_or_b64 exec, exec, s[42:43]
.LBB7_11:                               ;   in Loop: Header=BB7_12 Depth=1
	s_waitcnt vmcnt(0)
	s_barrier
	ds_read_b32 v2, v3 offset:4096
	s_mov_b32 s31, s29
	s_waitcnt lgkmcnt(0)
	s_barrier
	v_readfirstlane_b32 s25, v2
	s_add_i32 s30, s25, s30
	s_cmp_lt_i32 s29, s14
	s_cbranch_scc0 .LBB7_98
.LBB7_12:                               ; =>This Loop Header: Depth=1
                                        ;     Child Loop BB7_14 Depth 2
                                        ;     Child Loop BB7_45 Depth 2
	s_cmp_ge_i32 s24, s11
	ds_write_b32 v3, v3 offset:4096
	ds_write2_b32 v10, v3, v3 offset1:8
	ds_write2_b32 v10, v3, v3 offset0:16 offset1:24
	s_waitcnt lgkmcnt(0)
	s_barrier
	s_cbranch_scc1 .LBB7_42
; %bb.13:                               ;   in Loop: Header=BB7_12 Depth=1
	s_mul_i32 s25, s15, s24
	v_add_u32_e32 v2, s25, v1
	v_mad_u64_u32 v[4:5], s[42:43], s15, v2, v[0:1]
	v_add_u32_e32 v2, s25, v15
	v_mad_u64_u32 v[5:6], s[42:43], s15, v2, v[0:1]
	;; [unrolled: 2-line block ×5, first 2 shown]
	s_ashr_i32 s25, s24, 31
	s_lshl_b64 s[42:43], s[24:25], 2
	s_add_u32 s42, s2, s42
	s_addc_u32 s43, s3, s43
	s_mov_b32 s29, 0
	s_mov_b32 s33, s14
.LBB7_14:                               ;   Parent Loop BB7_12 Depth=1
                                        ; =>  This Inner Loop Header: Depth=2
	s_load_dword s25, s[42:43], 0x0
	s_mov_b64 s[46:47], -1
	s_waitcnt lgkmcnt(0)
	s_sub_i32 s48, s25, s8
	s_cmp_eq_u32 s48, s31
	s_cselect_b64 s[44:45], -1, 0
	s_cmp_lg_u32 s48, s31
                                        ; implicit-def: $sgpr25
	s_cbranch_scc1 .LBB7_18
; %bb.15:                               ;   in Loop: Header=BB7_14 Depth=2
	s_andn2_b64 vcc, exec, s[46:47]
	s_cbranch_vccz .LBB7_19
.LBB7_16:                               ;   in Loop: Header=BB7_14 Depth=2
	s_andn2_b64 vcc, exec, s[44:45]
	s_mov_b64 s[44:45], -1
	s_cbranch_vccnz .LBB7_36
.LBB7_17:                               ;   in Loop: Header=BB7_14 Depth=2
	s_add_i32 s24, s24, 1
	s_add_i32 s29, s29, s17
	s_add_u32 s42, s42, 4
	s_addc_u32 s43, s43, 0
	s_cmp_ge_i32 s24, s11
	s_cselect_b64 s[44:45], -1, 0
	s_andn2_b64 vcc, exec, s[44:45]
	s_cbranch_vccnz .LBB7_37
	s_branch .LBB7_43
.LBB7_18:                               ;   in Loop: Header=BB7_14 Depth=2
	s_min_i32 s25, s48, s33
	s_cbranch_execnz .LBB7_16
.LBB7_19:                               ;   in Loop: Header=BB7_14 Depth=2
	ds_write_b32 v3, v21 offset:4096
	s_and_saveexec_b64 s[46:47], s[34:35]
	s_cbranch_execz .LBB7_23
; %bb.20:                               ;   in Loop: Header=BB7_14 Depth=2
	s_and_b64 vcc, exec, s[4:5]
	s_cbranch_vccz .LBB7_38
; %bb.21:                               ;   in Loop: Header=BB7_14 Depth=2
	v_add_u32_e32 v2, s29, v4
	v_lshlrev_b64 v[22:23], 2, v[2:3]
	v_mov_b32_e32 v2, s19
	v_add_co_u32_e32 v22, vcc, s18, v22
	v_addc_co_u32_e32 v23, vcc, v2, v23, vcc
	global_load_dword v2, v[22:23], off
	s_waitcnt vmcnt(0)
	v_mul_f32_e32 v2, s12, v2
	ds_write_b32 v14, v2
	s_cbranch_execnz .LBB7_23
.LBB7_22:                               ;   in Loop: Header=BB7_14 Depth=2
	v_add_u32_e32 v2, s29, v8
	v_lshlrev_b64 v[22:23], 2, v[2:3]
	v_mov_b32_e32 v2, s19
	v_add_co_u32_e32 v22, vcc, s18, v22
	v_addc_co_u32_e32 v23, vcc, v2, v23, vcc
	global_load_dword v2, v[22:23], off
	s_waitcnt vmcnt(0)
	v_mul_f32_e32 v2, s12, v2
	ds_write_b32 v10, v2
.LBB7_23:                               ;   in Loop: Header=BB7_14 Depth=2
	s_or_b64 exec, exec, s[46:47]
	s_and_saveexec_b64 s[46:47], s[36:37]
	s_cbranch_execz .LBB7_27
; %bb.24:                               ;   in Loop: Header=BB7_14 Depth=2
	s_and_b64 vcc, exec, s[0:1]
	s_cbranch_vccnz .LBB7_39
; %bb.25:                               ;   in Loop: Header=BB7_14 Depth=2
	v_add_u32_e32 v2, s29, v5
	v_lshlrev_b64 v[22:23], 2, v[2:3]
	v_mov_b32_e32 v2, s19
	v_add_co_u32_e32 v22, vcc, s18, v22
	v_addc_co_u32_e32 v23, vcc, v2, v23, vcc
	global_load_dword v2, v[22:23], off
	s_waitcnt vmcnt(0)
	v_mul_f32_e32 v2, s12, v2
	ds_write_b32 v16, v2
	s_cbranch_execnz .LBB7_27
.LBB7_26:                               ;   in Loop: Header=BB7_14 Depth=2
	v_add3_u32 v2, v8, s29, 8
	v_lshlrev_b64 v[22:23], 2, v[2:3]
	v_mov_b32_e32 v2, s19
	v_add_co_u32_e32 v22, vcc, s18, v22
	v_addc_co_u32_e32 v23, vcc, v2, v23, vcc
	global_load_dword v2, v[22:23], off
	s_waitcnt vmcnt(0)
	v_mul_f32_e32 v2, s12, v2
	ds_write_b32 v11, v2
.LBB7_27:                               ;   in Loop: Header=BB7_14 Depth=2
	s_or_b64 exec, exec, s[46:47]
	s_and_saveexec_b64 s[46:47], s[38:39]
	s_cbranch_execz .LBB7_31
; %bb.28:                               ;   in Loop: Header=BB7_14 Depth=2
	s_and_b64 vcc, exec, s[0:1]
	s_cbranch_vccnz .LBB7_40
; %bb.29:                               ;   in Loop: Header=BB7_14 Depth=2
	v_add_u32_e32 v2, s29, v6
	v_lshlrev_b64 v[22:23], 2, v[2:3]
	v_mov_b32_e32 v2, s19
	v_add_co_u32_e32 v22, vcc, s18, v22
	v_addc_co_u32_e32 v23, vcc, v2, v23, vcc
	global_load_dword v2, v[22:23], off
	s_waitcnt vmcnt(0)
	v_mul_f32_e32 v2, s12, v2
	ds_write_b32 v18, v2
	s_cbranch_execnz .LBB7_31
.LBB7_30:                               ;   in Loop: Header=BB7_14 Depth=2
	v_add3_u32 v2, v8, s29, 16
	v_lshlrev_b64 v[22:23], 2, v[2:3]
	v_mov_b32_e32 v2, s19
	v_add_co_u32_e32 v22, vcc, s18, v22
	v_addc_co_u32_e32 v23, vcc, v2, v23, vcc
	global_load_dword v2, v[22:23], off
	s_waitcnt vmcnt(0)
	v_mul_f32_e32 v2, s12, v2
	ds_write_b32 v12, v2
.LBB7_31:                               ;   in Loop: Header=BB7_14 Depth=2
	s_or_b64 exec, exec, s[46:47]
	s_and_saveexec_b64 s[46:47], s[40:41]
	s_cbranch_execz .LBB7_35
; %bb.32:                               ;   in Loop: Header=BB7_14 Depth=2
	s_and_b64 vcc, exec, s[0:1]
	s_cbranch_vccnz .LBB7_41
; %bb.33:                               ;   in Loop: Header=BB7_14 Depth=2
	v_add_u32_e32 v2, s29, v7
	v_lshlrev_b64 v[22:23], 2, v[2:3]
	v_mov_b32_e32 v2, s19
	v_add_co_u32_e32 v22, vcc, s18, v22
	v_addc_co_u32_e32 v23, vcc, v2, v23, vcc
	global_load_dword v2, v[22:23], off
	s_waitcnt vmcnt(0)
	v_mul_f32_e32 v2, s12, v2
	ds_write_b32 v20, v2
	s_cbranch_execnz .LBB7_35
.LBB7_34:                               ;   in Loop: Header=BB7_14 Depth=2
	v_add3_u32 v2, v8, s29, 24
	v_lshlrev_b64 v[22:23], 2, v[2:3]
	v_mov_b32_e32 v2, s19
	v_add_co_u32_e32 v22, vcc, s18, v22
	v_addc_co_u32_e32 v23, vcc, v2, v23, vcc
	global_load_dword v2, v[22:23], off
	s_waitcnt vmcnt(0)
	v_mul_f32_e32 v2, s12, v2
	ds_write_b32 v13, v2
.LBB7_35:                               ;   in Loop: Header=BB7_14 Depth=2
	s_or_b64 exec, exec, s[46:47]
	s_mov_b32 s25, s33
	s_andn2_b64 vcc, exec, s[44:45]
	s_mov_b64 s[44:45], -1
	s_cbranch_vccz .LBB7_17
.LBB7_36:                               ;   in Loop: Header=BB7_14 Depth=2
                                        ; implicit-def: $sgpr29
                                        ; implicit-def: $sgpr42_sgpr43
	s_andn2_b64 vcc, exec, s[44:45]
	s_cbranch_vccz .LBB7_43
.LBB7_37:                               ;   in Loop: Header=BB7_14 Depth=2
	s_mov_b32 s33, s25
	s_branch .LBB7_14
.LBB7_38:                               ;   in Loop: Header=BB7_14 Depth=2
	s_branch .LBB7_22
.LBB7_39:                               ;   in Loop: Header=BB7_14 Depth=2
	s_branch .LBB7_26
.LBB7_40:                               ;   in Loop: Header=BB7_14 Depth=2
	s_branch .LBB7_30
.LBB7_41:                               ;   in Loop: Header=BB7_14 Depth=2
	s_branch .LBB7_34
.LBB7_42:                               ;   in Loop: Header=BB7_12 Depth=1
	s_mov_b32 s25, s14
.LBB7_43:                               ;   in Loop: Header=BB7_12 Depth=1
	s_cmp_ge_i32 s28, s13
	s_waitcnt lgkmcnt(0)
	s_barrier
	s_cbranch_scc1 .LBB7_73
; %bb.44:                               ;   in Loop: Header=BB7_12 Depth=1
	s_mul_i32 s29, s15, s28
	v_add_u32_e32 v2, s29, v1
	v_mad_u64_u32 v[4:5], s[42:43], s15, v2, v[0:1]
	v_add_u32_e32 v2, s29, v15
	v_mad_u64_u32 v[5:6], s[42:43], s15, v2, v[0:1]
	;; [unrolled: 2-line block ×5, first 2 shown]
	s_ashr_i32 s29, s28, 31
	s_lshl_b64 s[42:43], s[28:29], 2
	s_add_u32 s42, s6, s42
	s_addc_u32 s43, s7, s43
	s_mov_b32 s33, 0
.LBB7_45:                               ;   Parent Loop BB7_12 Depth=1
                                        ; =>  This Inner Loop Header: Depth=2
	s_load_dword s29, s[42:43], 0x0
	s_mov_b64 s[46:47], -1
	s_waitcnt lgkmcnt(0)
	s_sub_i32 s48, s29, s9
	s_cmp_eq_u32 s48, s31
	s_cselect_b64 s[44:45], -1, 0
	s_cmp_lg_u32 s48, s31
                                        ; implicit-def: $sgpr29
	s_cbranch_scc1 .LBB7_49
; %bb.46:                               ;   in Loop: Header=BB7_45 Depth=2
	s_andn2_b64 vcc, exec, s[46:47]
	s_cbranch_vccz .LBB7_50
.LBB7_47:                               ;   in Loop: Header=BB7_45 Depth=2
	s_andn2_b64 vcc, exec, s[44:45]
	s_mov_b64 s[44:45], -1
	s_cbranch_vccnz .LBB7_67
.LBB7_48:                               ;   in Loop: Header=BB7_45 Depth=2
	s_add_i32 s28, s28, 1
	s_add_i32 s33, s33, s17
	s_add_u32 s42, s42, 4
	s_addc_u32 s43, s43, 0
	s_cmp_ge_i32 s28, s13
	s_cselect_b64 s[44:45], -1, 0
	s_andn2_b64 vcc, exec, s[44:45]
	s_cbranch_vccnz .LBB7_68
	s_branch .LBB7_74
.LBB7_49:                               ;   in Loop: Header=BB7_45 Depth=2
	s_min_i32 s29, s48, s25
	s_cbranch_execnz .LBB7_47
.LBB7_50:                               ;   in Loop: Header=BB7_45 Depth=2
	ds_write_b32 v3, v21 offset:4096
	s_and_saveexec_b64 s[46:47], s[34:35]
	s_cbranch_execz .LBB7_54
; %bb.51:                               ;   in Loop: Header=BB7_45 Depth=2
	s_and_b64 vcc, exec, s[4:5]
	s_cbranch_vccz .LBB7_69
; %bb.52:                               ;   in Loop: Header=BB7_45 Depth=2
	v_add_u32_e32 v2, s33, v4
	v_lshlrev_b64 v[22:23], 2, v[2:3]
	v_mov_b32_e32 v2, s27
	v_add_co_u32_e32 v22, vcc, s26, v22
	v_addc_co_u32_e32 v23, vcc, v2, v23, vcc
	global_load_dword v2, v[22:23], off
	ds_read_b32 v9, v14
	s_waitcnt vmcnt(0) lgkmcnt(0)
	v_fmac_f32_e32 v9, s16, v2
	ds_write_b32 v14, v9
	s_cbranch_execnz .LBB7_54
.LBB7_53:                               ;   in Loop: Header=BB7_45 Depth=2
	v_add_u32_e32 v2, s33, v8
	v_lshlrev_b64 v[22:23], 2, v[2:3]
	v_mov_b32_e32 v2, s27
	v_add_co_u32_e32 v22, vcc, s26, v22
	v_addc_co_u32_e32 v23, vcc, v2, v23, vcc
	global_load_dword v2, v[22:23], off
	ds_read_b32 v9, v10
	s_waitcnt vmcnt(0) lgkmcnt(0)
	v_fmac_f32_e32 v9, s16, v2
	ds_write_b32 v10, v9
.LBB7_54:                               ;   in Loop: Header=BB7_45 Depth=2
	s_or_b64 exec, exec, s[46:47]
	s_and_saveexec_b64 s[46:47], s[36:37]
	s_cbranch_execz .LBB7_58
; %bb.55:                               ;   in Loop: Header=BB7_45 Depth=2
	s_and_b64 vcc, exec, s[0:1]
	s_cbranch_vccnz .LBB7_70
; %bb.56:                               ;   in Loop: Header=BB7_45 Depth=2
	v_add_u32_e32 v2, s33, v5
	v_lshlrev_b64 v[22:23], 2, v[2:3]
	v_mov_b32_e32 v2, s27
	v_add_co_u32_e32 v22, vcc, s26, v22
	v_addc_co_u32_e32 v23, vcc, v2, v23, vcc
	global_load_dword v2, v[22:23], off
	ds_read_b32 v9, v16
	s_waitcnt vmcnt(0) lgkmcnt(0)
	v_fmac_f32_e32 v9, s16, v2
	ds_write_b32 v16, v9
	s_cbranch_execnz .LBB7_58
.LBB7_57:                               ;   in Loop: Header=BB7_45 Depth=2
	v_add3_u32 v2, v8, s33, 8
	v_lshlrev_b64 v[22:23], 2, v[2:3]
	v_mov_b32_e32 v2, s27
	v_add_co_u32_e32 v22, vcc, s26, v22
	v_addc_co_u32_e32 v23, vcc, v2, v23, vcc
	global_load_dword v2, v[22:23], off
	ds_read_b32 v9, v11
	s_waitcnt vmcnt(0) lgkmcnt(0)
	v_fmac_f32_e32 v9, s16, v2
	ds_write_b32 v11, v9
.LBB7_58:                               ;   in Loop: Header=BB7_45 Depth=2
	s_or_b64 exec, exec, s[46:47]
	s_and_saveexec_b64 s[46:47], s[38:39]
	s_cbranch_execz .LBB7_62
; %bb.59:                               ;   in Loop: Header=BB7_45 Depth=2
	s_and_b64 vcc, exec, s[0:1]
	s_cbranch_vccnz .LBB7_71
; %bb.60:                               ;   in Loop: Header=BB7_45 Depth=2
	v_add_u32_e32 v2, s33, v6
	v_lshlrev_b64 v[22:23], 2, v[2:3]
	v_mov_b32_e32 v2, s27
	v_add_co_u32_e32 v22, vcc, s26, v22
	v_addc_co_u32_e32 v23, vcc, v2, v23, vcc
	global_load_dword v2, v[22:23], off
	ds_read_b32 v9, v18
	s_waitcnt vmcnt(0) lgkmcnt(0)
	v_fmac_f32_e32 v9, s16, v2
	ds_write_b32 v18, v9
	s_cbranch_execnz .LBB7_62
.LBB7_61:                               ;   in Loop: Header=BB7_45 Depth=2
	v_add3_u32 v2, v8, s33, 16
	v_lshlrev_b64 v[22:23], 2, v[2:3]
	v_mov_b32_e32 v2, s27
	v_add_co_u32_e32 v22, vcc, s26, v22
	v_addc_co_u32_e32 v23, vcc, v2, v23, vcc
	global_load_dword v2, v[22:23], off
	ds_read_b32 v9, v12
	s_waitcnt vmcnt(0) lgkmcnt(0)
	v_fmac_f32_e32 v9, s16, v2
	ds_write_b32 v12, v9
.LBB7_62:                               ;   in Loop: Header=BB7_45 Depth=2
	s_or_b64 exec, exec, s[46:47]
	s_and_saveexec_b64 s[46:47], s[40:41]
	s_cbranch_execz .LBB7_66
; %bb.63:                               ;   in Loop: Header=BB7_45 Depth=2
	s_and_b64 vcc, exec, s[0:1]
	s_cbranch_vccnz .LBB7_72
; %bb.64:                               ;   in Loop: Header=BB7_45 Depth=2
	v_add_u32_e32 v2, s33, v7
	v_lshlrev_b64 v[22:23], 2, v[2:3]
	v_mov_b32_e32 v2, s27
	v_add_co_u32_e32 v22, vcc, s26, v22
	v_addc_co_u32_e32 v23, vcc, v2, v23, vcc
	global_load_dword v2, v[22:23], off
	ds_read_b32 v9, v20
	s_waitcnt vmcnt(0) lgkmcnt(0)
	v_fmac_f32_e32 v9, s16, v2
	ds_write_b32 v20, v9
	s_cbranch_execnz .LBB7_66
.LBB7_65:                               ;   in Loop: Header=BB7_45 Depth=2
	v_add3_u32 v2, v8, s33, 24
	v_lshlrev_b64 v[22:23], 2, v[2:3]
	v_mov_b32_e32 v2, s27
	v_add_co_u32_e32 v22, vcc, s26, v22
	v_addc_co_u32_e32 v23, vcc, v2, v23, vcc
	global_load_dword v2, v[22:23], off
	ds_read_b32 v9, v13
	s_waitcnt vmcnt(0) lgkmcnt(0)
	v_fmac_f32_e32 v9, s16, v2
	ds_write_b32 v13, v9
.LBB7_66:                               ;   in Loop: Header=BB7_45 Depth=2
	s_or_b64 exec, exec, s[46:47]
	s_mov_b32 s29, s25
	s_andn2_b64 vcc, exec, s[44:45]
	s_mov_b64 s[44:45], -1
	s_cbranch_vccz .LBB7_48
.LBB7_67:                               ;   in Loop: Header=BB7_45 Depth=2
                                        ; implicit-def: $sgpr33
                                        ; implicit-def: $sgpr42_sgpr43
	s_andn2_b64 vcc, exec, s[44:45]
	s_cbranch_vccz .LBB7_74
.LBB7_68:                               ;   in Loop: Header=BB7_45 Depth=2
	s_mov_b32 s25, s29
	s_branch .LBB7_45
.LBB7_69:                               ;   in Loop: Header=BB7_45 Depth=2
	s_branch .LBB7_53
.LBB7_70:                               ;   in Loop: Header=BB7_45 Depth=2
	s_branch .LBB7_57
.LBB7_71:                               ;   in Loop: Header=BB7_45 Depth=2
	s_branch .LBB7_61
.LBB7_72:                               ;   in Loop: Header=BB7_45 Depth=2
	s_branch .LBB7_65
.LBB7_73:                               ;   in Loop: Header=BB7_12 Depth=1
	s_mov_b32 s29, s25
.LBB7_74:                               ;   in Loop: Header=BB7_12 Depth=1
	s_waitcnt lgkmcnt(0)
	s_barrier
	ds_read_b32 v2, v3 offset:4096
	s_waitcnt lgkmcnt(0)
	v_cmp_eq_u32_e32 vcc, 0, v2
	s_cbranch_vccnz .LBB7_11
; %bb.75:                               ;   in Loop: Header=BB7_12 Depth=1
	s_mul_i32 s25, s30, s15
	v_add_u32_e32 v2, s25, v0
	s_add_i32 s33, s31, s10
	s_ashr_i32 s31, s30, 31
	v_mul_lo_u32 v4, v2, s15
	s_lshl_b64 s[42:43], s[30:31], 2
	s_add_u32 s42, s20, s42
	s_addc_u32 s43, s21, s43
	v_mov_b32_e32 v2, s33
	global_store_dword v3, v2, s[42:43]
	s_and_saveexec_b64 s[42:43], s[34:35]
	s_cbranch_execnz .LBB7_79
; %bb.76:                               ;   in Loop: Header=BB7_12 Depth=1
	s_or_b64 exec, exec, s[42:43]
	s_and_saveexec_b64 s[42:43], s[36:37]
	s_cbranch_execnz .LBB7_83
.LBB7_77:                               ;   in Loop: Header=BB7_12 Depth=1
	s_or_b64 exec, exec, s[42:43]
	s_and_saveexec_b64 s[42:43], s[38:39]
	s_cbranch_execnz .LBB7_87
.LBB7_78:                               ;   in Loop: Header=BB7_12 Depth=1
	s_or_b64 exec, exec, s[42:43]
	s_and_saveexec_b64 s[42:43], s[40:41]
	s_cbranch_execz .LBB7_10
	s_branch .LBB7_91
.LBB7_79:                               ;   in Loop: Header=BB7_12 Depth=1
	s_and_b64 vcc, exec, s[4:5]
	s_cbranch_vccz .LBB7_93
; %bb.80:                               ;   in Loop: Header=BB7_12 Depth=1
	v_add_u32_e32 v2, s25, v1
	v_mad_u64_u32 v[5:6], s[44:45], v2, s15, v[0:1]
	v_mov_b32_e32 v2, v5
	v_mov_b32_e32 v5, v14
	s_cbranch_execnz .LBB7_82
.LBB7_81:                               ;   in Loop: Header=BB7_12 Depth=1
	v_add_u32_e32 v2, v4, v1
	v_mov_b32_e32 v5, v10
.LBB7_82:                               ;   in Loop: Header=BB7_12 Depth=1
	ds_read_b32 v7, v5
	v_lshlrev_b64 v[5:6], 2, v[2:3]
	v_mov_b32_e32 v2, s23
	v_add_co_u32_e32 v5, vcc, s22, v5
	v_addc_co_u32_e32 v6, vcc, v2, v6, vcc
	s_waitcnt lgkmcnt(0)
	global_store_dword v[5:6], v7, off
	s_or_b64 exec, exec, s[42:43]
	s_and_saveexec_b64 s[42:43], s[36:37]
	s_cbranch_execz .LBB7_77
.LBB7_83:                               ;   in Loop: Header=BB7_12 Depth=1
	s_and_b64 vcc, exec, s[0:1]
	s_cbranch_vccnz .LBB7_94
; %bb.84:                               ;   in Loop: Header=BB7_12 Depth=1
	v_add_u32_e32 v2, s25, v15
	v_mad_u64_u32 v[5:6], s[44:45], v2, s15, v[0:1]
	v_mov_b32_e32 v2, v5
	v_mov_b32_e32 v5, v16
	s_cbranch_execnz .LBB7_86
.LBB7_85:                               ;   in Loop: Header=BB7_12 Depth=1
	v_add_u32_e32 v2, v4, v15
	v_mov_b32_e32 v5, v11
.LBB7_86:                               ;   in Loop: Header=BB7_12 Depth=1
	ds_read_b32 v7, v5
	v_lshlrev_b64 v[5:6], 2, v[2:3]
	v_mov_b32_e32 v2, s23
	v_add_co_u32_e32 v5, vcc, s22, v5
	v_addc_co_u32_e32 v6, vcc, v2, v6, vcc
	s_waitcnt lgkmcnt(0)
	global_store_dword v[5:6], v7, off
	s_or_b64 exec, exec, s[42:43]
	s_and_saveexec_b64 s[42:43], s[38:39]
	s_cbranch_execz .LBB7_78
.LBB7_87:                               ;   in Loop: Header=BB7_12 Depth=1
	s_and_b64 vcc, exec, s[0:1]
	s_cbranch_vccnz .LBB7_95
; %bb.88:                               ;   in Loop: Header=BB7_12 Depth=1
	v_add_u32_e32 v2, s25, v17
	v_mad_u64_u32 v[5:6], s[44:45], v2, s15, v[0:1]
	v_mov_b32_e32 v2, v5
	v_mov_b32_e32 v5, v18
	s_cbranch_execnz .LBB7_90
.LBB7_89:                               ;   in Loop: Header=BB7_12 Depth=1
	v_add_u32_e32 v2, v4, v17
	v_mov_b32_e32 v5, v12
.LBB7_90:                               ;   in Loop: Header=BB7_12 Depth=1
	ds_read_b32 v7, v5
	v_lshlrev_b64 v[5:6], 2, v[2:3]
	v_mov_b32_e32 v2, s23
	v_add_co_u32_e32 v5, vcc, s22, v5
	v_addc_co_u32_e32 v6, vcc, v2, v6, vcc
	s_waitcnt lgkmcnt(0)
	global_store_dword v[5:6], v7, off
	s_or_b64 exec, exec, s[42:43]
	s_and_saveexec_b64 s[42:43], s[40:41]
	s_cbranch_execz .LBB7_10
.LBB7_91:                               ;   in Loop: Header=BB7_12 Depth=1
	s_and_b64 vcc, exec, s[0:1]
	s_cbranch_vccnz .LBB7_96
; %bb.92:                               ;   in Loop: Header=BB7_12 Depth=1
	v_add_u32_e32 v2, s25, v19
	v_mad_u64_u32 v[5:6], s[44:45], v2, s15, v[0:1]
	v_mov_b32_e32 v2, v5
	v_mov_b32_e32 v5, v20
	s_cbranch_execnz .LBB7_9
	s_branch .LBB7_97
.LBB7_93:                               ;   in Loop: Header=BB7_12 Depth=1
	v_mov_b32_e32 v5, v14
	s_branch .LBB7_81
.LBB7_94:                               ;   in Loop: Header=BB7_12 Depth=1
	v_mov_b32_e32 v5, v16
	s_branch .LBB7_85
.LBB7_95:                               ;   in Loop: Header=BB7_12 Depth=1
	v_mov_b32_e32 v5, v18
	s_branch .LBB7_89
.LBB7_96:                               ;   in Loop: Header=BB7_12 Depth=1
	v_mov_b32_e32 v5, v20
.LBB7_97:                               ;   in Loop: Header=BB7_12 Depth=1
	v_add_u32_e32 v2, v4, v19
	v_mov_b32_e32 v5, v13
	s_branch .LBB7_9
.LBB7_98:
	s_endpgm
	.section	.rodata,"a",@progbits
	.p2align	6, 0x0
	.amdhsa_kernel _ZN9rocsparseL39bsrgeam_block_per_row_multipass_kernel2ILj256ELj32EfEEv20rocsparse_direction_iiiNS_24const_host_device_scalarIT1_EEPKiS6_PKS3_S4_S6_S6_S8_S6_PiPS3_21rocsparse_index_base_SB_SB_b
		.amdhsa_group_segment_fixed_size 4100
		.amdhsa_private_segment_fixed_size 0
		.amdhsa_kernarg_size 120
		.amdhsa_user_sgpr_count 6
		.amdhsa_user_sgpr_private_segment_buffer 1
		.amdhsa_user_sgpr_dispatch_ptr 0
		.amdhsa_user_sgpr_queue_ptr 0
		.amdhsa_user_sgpr_kernarg_segment_ptr 1
		.amdhsa_user_sgpr_dispatch_id 0
		.amdhsa_user_sgpr_flat_scratch_init 0
		.amdhsa_user_sgpr_private_segment_size 0
		.amdhsa_uses_dynamic_stack 0
		.amdhsa_system_sgpr_private_segment_wavefront_offset 0
		.amdhsa_system_sgpr_workgroup_id_x 1
		.amdhsa_system_sgpr_workgroup_id_y 0
		.amdhsa_system_sgpr_workgroup_id_z 0
		.amdhsa_system_sgpr_workgroup_info 0
		.amdhsa_system_vgpr_workitem_id 0
		.amdhsa_next_free_vgpr 24
		.amdhsa_next_free_sgpr 49
		.amdhsa_reserve_vcc 1
		.amdhsa_reserve_flat_scratch 0
		.amdhsa_float_round_mode_32 0
		.amdhsa_float_round_mode_16_64 0
		.amdhsa_float_denorm_mode_32 3
		.amdhsa_float_denorm_mode_16_64 3
		.amdhsa_dx10_clamp 1
		.amdhsa_ieee_mode 1
		.amdhsa_fp16_overflow 0
		.amdhsa_exception_fp_ieee_invalid_op 0
		.amdhsa_exception_fp_denorm_src 0
		.amdhsa_exception_fp_ieee_div_zero 0
		.amdhsa_exception_fp_ieee_overflow 0
		.amdhsa_exception_fp_ieee_underflow 0
		.amdhsa_exception_fp_ieee_inexact 0
		.amdhsa_exception_int_div_zero 0
	.end_amdhsa_kernel
	.section	.text._ZN9rocsparseL39bsrgeam_block_per_row_multipass_kernel2ILj256ELj32EfEEv20rocsparse_direction_iiiNS_24const_host_device_scalarIT1_EEPKiS6_PKS3_S4_S6_S6_S8_S6_PiPS3_21rocsparse_index_base_SB_SB_b,"axG",@progbits,_ZN9rocsparseL39bsrgeam_block_per_row_multipass_kernel2ILj256ELj32EfEEv20rocsparse_direction_iiiNS_24const_host_device_scalarIT1_EEPKiS6_PKS3_S4_S6_S6_S8_S6_PiPS3_21rocsparse_index_base_SB_SB_b,comdat
.Lfunc_end7:
	.size	_ZN9rocsparseL39bsrgeam_block_per_row_multipass_kernel2ILj256ELj32EfEEv20rocsparse_direction_iiiNS_24const_host_device_scalarIT1_EEPKiS6_PKS3_S4_S6_S6_S8_S6_PiPS3_21rocsparse_index_base_SB_SB_b, .Lfunc_end7-_ZN9rocsparseL39bsrgeam_block_per_row_multipass_kernel2ILj256ELj32EfEEv20rocsparse_direction_iiiNS_24const_host_device_scalarIT1_EEPKiS6_PKS3_S4_S6_S6_S8_S6_PiPS3_21rocsparse_index_base_SB_SB_b
                                        ; -- End function
	.set _ZN9rocsparseL39bsrgeam_block_per_row_multipass_kernel2ILj256ELj32EfEEv20rocsparse_direction_iiiNS_24const_host_device_scalarIT1_EEPKiS6_PKS3_S4_S6_S6_S8_S6_PiPS3_21rocsparse_index_base_SB_SB_b.num_vgpr, 24
	.set _ZN9rocsparseL39bsrgeam_block_per_row_multipass_kernel2ILj256ELj32EfEEv20rocsparse_direction_iiiNS_24const_host_device_scalarIT1_EEPKiS6_PKS3_S4_S6_S6_S8_S6_PiPS3_21rocsparse_index_base_SB_SB_b.num_agpr, 0
	.set _ZN9rocsparseL39bsrgeam_block_per_row_multipass_kernel2ILj256ELj32EfEEv20rocsparse_direction_iiiNS_24const_host_device_scalarIT1_EEPKiS6_PKS3_S4_S6_S6_S8_S6_PiPS3_21rocsparse_index_base_SB_SB_b.numbered_sgpr, 49
	.set _ZN9rocsparseL39bsrgeam_block_per_row_multipass_kernel2ILj256ELj32EfEEv20rocsparse_direction_iiiNS_24const_host_device_scalarIT1_EEPKiS6_PKS3_S4_S6_S6_S8_S6_PiPS3_21rocsparse_index_base_SB_SB_b.num_named_barrier, 0
	.set _ZN9rocsparseL39bsrgeam_block_per_row_multipass_kernel2ILj256ELj32EfEEv20rocsparse_direction_iiiNS_24const_host_device_scalarIT1_EEPKiS6_PKS3_S4_S6_S6_S8_S6_PiPS3_21rocsparse_index_base_SB_SB_b.private_seg_size, 0
	.set _ZN9rocsparseL39bsrgeam_block_per_row_multipass_kernel2ILj256ELj32EfEEv20rocsparse_direction_iiiNS_24const_host_device_scalarIT1_EEPKiS6_PKS3_S4_S6_S6_S8_S6_PiPS3_21rocsparse_index_base_SB_SB_b.uses_vcc, 1
	.set _ZN9rocsparseL39bsrgeam_block_per_row_multipass_kernel2ILj256ELj32EfEEv20rocsparse_direction_iiiNS_24const_host_device_scalarIT1_EEPKiS6_PKS3_S4_S6_S6_S8_S6_PiPS3_21rocsparse_index_base_SB_SB_b.uses_flat_scratch, 0
	.set _ZN9rocsparseL39bsrgeam_block_per_row_multipass_kernel2ILj256ELj32EfEEv20rocsparse_direction_iiiNS_24const_host_device_scalarIT1_EEPKiS6_PKS3_S4_S6_S6_S8_S6_PiPS3_21rocsparse_index_base_SB_SB_b.has_dyn_sized_stack, 0
	.set _ZN9rocsparseL39bsrgeam_block_per_row_multipass_kernel2ILj256ELj32EfEEv20rocsparse_direction_iiiNS_24const_host_device_scalarIT1_EEPKiS6_PKS3_S4_S6_S6_S8_S6_PiPS3_21rocsparse_index_base_SB_SB_b.has_recursion, 0
	.set _ZN9rocsparseL39bsrgeam_block_per_row_multipass_kernel2ILj256ELj32EfEEv20rocsparse_direction_iiiNS_24const_host_device_scalarIT1_EEPKiS6_PKS3_S4_S6_S6_S8_S6_PiPS3_21rocsparse_index_base_SB_SB_b.has_indirect_call, 0
	.section	.AMDGPU.csdata,"",@progbits
; Kernel info:
; codeLenInByte = 2668
; TotalNumSgprs: 53
; NumVgprs: 24
; ScratchSize: 0
; MemoryBound: 0
; FloatMode: 240
; IeeeMode: 1
; LDSByteSize: 4100 bytes/workgroup (compile time only)
; SGPRBlocks: 6
; VGPRBlocks: 5
; NumSGPRsForWavesPerEU: 53
; NumVGPRsForWavesPerEU: 24
; Occupancy: 10
; WaveLimiterHint : 1
; COMPUTE_PGM_RSRC2:SCRATCH_EN: 0
; COMPUTE_PGM_RSRC2:USER_SGPR: 6
; COMPUTE_PGM_RSRC2:TRAP_HANDLER: 0
; COMPUTE_PGM_RSRC2:TGID_X_EN: 1
; COMPUTE_PGM_RSRC2:TGID_Y_EN: 0
; COMPUTE_PGM_RSRC2:TGID_Z_EN: 0
; COMPUTE_PGM_RSRC2:TIDIG_COMP_CNT: 0
	.section	.text._ZN9rocsparseL39bsrgeam_wf_per_row_multipass_2_3_kernelILj256ELj2ELj32EdEEv20rocsparse_direction_iiiNS_24const_host_device_scalarIT2_EEPKiS6_PKS3_S4_S6_S6_S8_S6_PiPS3_21rocsparse_index_base_SB_SB_b,"axG",@progbits,_ZN9rocsparseL39bsrgeam_wf_per_row_multipass_2_3_kernelILj256ELj2ELj32EdEEv20rocsparse_direction_iiiNS_24const_host_device_scalarIT2_EEPKiS6_PKS3_S4_S6_S6_S8_S6_PiPS3_21rocsparse_index_base_SB_SB_b,comdat
	.globl	_ZN9rocsparseL39bsrgeam_wf_per_row_multipass_2_3_kernelILj256ELj2ELj32EdEEv20rocsparse_direction_iiiNS_24const_host_device_scalarIT2_EEPKiS6_PKS3_S4_S6_S6_S8_S6_PiPS3_21rocsparse_index_base_SB_SB_b ; -- Begin function _ZN9rocsparseL39bsrgeam_wf_per_row_multipass_2_3_kernelILj256ELj2ELj32EdEEv20rocsparse_direction_iiiNS_24const_host_device_scalarIT2_EEPKiS6_PKS3_S4_S6_S6_S8_S6_PiPS3_21rocsparse_index_base_SB_SB_b
	.p2align	8
	.type	_ZN9rocsparseL39bsrgeam_wf_per_row_multipass_2_3_kernelILj256ELj2ELj32EdEEv20rocsparse_direction_iiiNS_24const_host_device_scalarIT2_EEPKiS6_PKS3_S4_S6_S6_S8_S6_PiPS3_21rocsparse_index_base_SB_SB_b,@function
_ZN9rocsparseL39bsrgeam_wf_per_row_multipass_2_3_kernelILj256ELj2ELj32EdEEv20rocsparse_direction_iiiNS_24const_host_device_scalarIT2_EEPKiS6_PKS3_S4_S6_S6_S8_S6_PiPS3_21rocsparse_index_base_SB_SB_b: ; @_ZN9rocsparseL39bsrgeam_wf_per_row_multipass_2_3_kernelILj256ELj2ELj32EdEEv20rocsparse_direction_iiiNS_24const_host_device_scalarIT2_EEPKiS6_PKS3_S4_S6_S6_S8_S6_PiPS3_21rocsparse_index_base_SB_SB_b
; %bb.0:
	s_load_dwordx4 s[8:11], s[4:5], 0x68
	s_load_dwordx2 s[12:13], s[4:5], 0x10
	s_load_dwordx2 s[0:1], s[4:5], 0x30
	s_waitcnt lgkmcnt(0)
	s_bitcmp1_b32 s11, 0
	s_cselect_b64 s[14:15], -1, 0
	v_mov_b32_e32 v8, s12
	s_xor_b64 s[2:3], s[14:15], -1
	s_and_b64 vcc, exec, s[14:15]
	v_mov_b32_e32 v9, s13
	s_cbranch_vccnz .LBB8_2
; %bb.1:
	v_mov_b32_e32 v1, s12
	v_mov_b32_e32 v2, s13
	flat_load_dwordx2 v[8:9], v[1:2]
.LBB8_2:
	v_mov_b32_e32 v11, s1
	s_andn2_b64 vcc, exec, s[2:3]
	v_mov_b32_e32 v10, s0
	s_cbranch_vccnz .LBB8_4
; %bb.3:
	v_mov_b32_e32 v2, s1
	v_mov_b32_e32 v1, s0
	flat_load_dwordx2 v[10:11], v[1:2]
.LBB8_4:
	s_load_dwordx4 s[12:15], s[4:5], 0x0
	s_lshl_b32 s0, s6, 3
	v_lshrrev_b32_e32 v12, 5, v0
	s_and_b32 s0, s0, 0x7fffff8
	v_or_b32_e32 v1, s0, v12
	s_waitcnt lgkmcnt(0)
	v_cmp_gt_i32_e32 vcc, s13, v1
	s_and_saveexec_b64 s[0:1], vcc
	s_cbranch_execz .LBB8_39
; %bb.5:
	s_load_dwordx4 s[16:19], s[4:5], 0x18
	s_load_dwordx4 s[20:23], s[4:5], 0x38
	s_load_dwordx2 s[0:1], s[4:5], 0x50
	v_lshlrev_b32_e32 v5, 2, v1
	s_waitcnt lgkmcnt(0)
	global_load_dwordx2 v[1:2], v5, s[16:17]
	global_load_dwordx2 v[3:4], v5, s[20:21]
	global_load_dword v13, v5, s[0:1]
	s_waitcnt vmcnt(0)
	v_subrev_u32_e32 v5, s8, v1
	v_cmp_lt_i32_e32 vcc, v1, v2
	v_mov_b32_e32 v1, s14
	s_and_saveexec_b64 s[0:1], vcc
	s_cbranch_execz .LBB8_7
; %bb.6:
	v_ashrrev_i32_e32 v6, 31, v5
	v_lshlrev_b64 v[6:7], 2, v[5:6]
	v_mov_b32_e32 v1, s19
	v_add_co_u32_e32 v6, vcc, s18, v6
	v_addc_co_u32_e32 v7, vcc, v1, v7, vcc
	global_load_dword v1, v[6:7], off
	s_waitcnt vmcnt(0)
	v_subrev_u32_e32 v1, s8, v1
.LBB8_7:
	s_or_b64 exec, exec, s[0:1]
	s_load_dwordx4 s[24:27], s[4:5], 0x58
	s_load_dwordx2 s[6:7], s[4:5], 0x28
	s_load_dwordx2 s[16:17], s[4:5], 0x48
	v_subrev_u32_e32 v6, s9, v3
	v_cmp_lt_i32_e32 vcc, v3, v4
	v_mov_b32_e32 v3, s14
	s_and_saveexec_b64 s[0:1], vcc
	s_cbranch_execz .LBB8_9
; %bb.8:
	v_ashrrev_i32_e32 v7, 31, v6
	v_lshlrev_b64 v[14:15], 2, v[6:7]
	v_mov_b32_e32 v3, s23
	v_add_co_u32_e32 v14, vcc, s22, v14
	v_addc_co_u32_e32 v15, vcc, v3, v15, vcc
	global_load_dword v3, v[14:15], off
	s_waitcnt vmcnt(0)
	v_subrev_u32_e32 v3, s9, v3
.LBB8_9:
	s_or_b64 exec, exec, s[0:1]
	v_min_i32_e32 v37, v3, v1
	v_mbcnt_lo_u32_b32 v1, -1, 0
	v_and_b32_e32 v7, 0xe0, v0
	v_and_b32_e32 v0, 31, v0
	v_mbcnt_hi_u32_b32 v1, -1, v1
	v_subrev_u32_e32 v22, s8, v2
	v_and_b32_e32 v2, 64, v1
	v_xor_b32_e32 v3, 31, v0
	v_add_u32_e32 v2, 64, v2
	v_lshrrev_b32_e64 v26, v3, -1
	v_xor_b32_e32 v3, 16, v1
	v_cmp_lt_i32_e32 vcc, v3, v2
	v_cndmask_b32_e32 v3, v1, v3, vcc
	v_lshlrev_b32_e32 v28, 2, v3
	v_xor_b32_e32 v3, 8, v1
	v_cmp_lt_i32_e32 vcc, v3, v2
	v_cndmask_b32_e32 v3, v1, v3, vcc
	v_lshlrev_b32_e32 v29, 2, v3
	;; [unrolled: 4-line block ×4, first 2 shown]
	v_xor_b32_e32 v3, 1, v1
	s_cmp_lg_u32 s12, 0
	v_cmp_lt_i32_e32 vcc, v3, v2
	v_or_b32_e32 v20, 0x2000, v7
	v_lshlrev_b32_e32 v21, 10, v12
	s_mov_b32 s0, 0
	s_cselect_b64 s[20:21], -1, 0
	s_cmp_eq_u32 s12, 0
	v_cndmask_b32_e32 v1, v1, v3, vcc
	v_subrev_u32_e32 v23, s9, v4
	v_subrev_u32_e32 v24, s10, v13
	v_add_u32_e32 v12, v5, v0
	v_add_u32_e32 v14, v6, v0
	v_lshl_or_b32 v25, v0, 5, v21
	v_add_u32_e32 v27, s10, v0
	v_lshlrev_b32_e32 v32, 2, v1
	s_cselect_b32 s10, 8, 16
	s_cselect_b32 s11, 16, 8
	v_add_u32_e32 v33, v20, v0
	s_mov_b32 s1, s0
	s_mov_b32 s2, s0
	s_mov_b32 s3, s0
	v_mov_b32_e32 v0, s0
	v_cndmask_b32_e64 v4, 0, 1, s[20:21]
	s_mov_b64 s[4:5], 0
	v_mov_b32_e32 v17, 0
	v_mov_b32_e32 v1, s1
	;; [unrolled: 1-line block ×5, first 2 shown]
	v_cmp_ne_u32_e64 s[0:1], 1, v4
	v_add_u32_e32 v35, s10, v25
	v_add_u32_e32 v36, s11, v25
	s_branch .LBB8_11
.LBB8_10:                               ;   in Loop: Header=BB8_11 Depth=1
	s_or_b64 exec, exec, s[10:11]
	ds_bpermute_b32 v4, v28, v38
	s_bcnt1_i32_b64 s2, vcc
	v_add_u32_e32 v24, s2, v24
	s_waitcnt lgkmcnt(0)
	v_min_i32_e32 v4, v4, v38
	ds_bpermute_b32 v5, v29, v4
	s_waitcnt lgkmcnt(0)
	v_min_i32_e32 v4, v5, v4
	ds_bpermute_b32 v5, v30, v4
	;; [unrolled: 3-line block ×4, first 2 shown]
	s_waitcnt lgkmcnt(0)
	v_min_i32_e32 v37, v5, v4
	v_cmp_le_i32_e32 vcc, s14, v37
	s_or_b64 s[4:5], vcc, s[4:5]
	s_andn2_b64 exec, exec, s[4:5]
	s_cbranch_execz .LBB8_39
.LBB8_11:                               ; =>This Loop Header: Depth=1
                                        ;     Child Loop BB8_14 Depth 2
                                        ;     Child Loop BB8_27 Depth 2
	v_cmp_lt_i32_e32 vcc, v12, v22
	v_mov_b32_e32 v38, s14
	ds_write_b8 v33, v17
	ds_write_b128 v25, v[0:3]
	ds_write_b128 v25, v[0:3] offset:16
	s_waitcnt lgkmcnt(0)
	s_and_saveexec_b64 s[10:11], vcc
	s_cbranch_execz .LBB8_24
; %bb.12:                               ;   in Loop: Header=BB8_11 Depth=1
	v_lshlrev_b32_e32 v16, 2, v12
	s_mov_b64 s[12:13], 0
	v_mov_b32_e32 v38, s14
	s_branch .LBB8_14
.LBB8_13:                               ;   in Loop: Header=BB8_14 Depth=2
	s_or_b64 exec, exec, s[28:29]
	s_and_b64 s[2:3], exec, s[20:21]
	s_or_b64 s[12:13], s[2:3], s[12:13]
	s_andn2_b64 exec, exec, s[12:13]
	s_cbranch_execz .LBB8_23
.LBB8_14:                               ;   Parent Loop BB8_11 Depth=1
                                        ; =>  This Inner Loop Header: Depth=2
	v_ashrrev_i32_e32 v13, 31, v12
	v_lshlrev_b64 v[4:5], 2, v[12:13]
	v_mov_b32_e32 v6, s19
	v_add_co_u32_e32 v4, vcc, s18, v4
	v_addc_co_u32_e32 v5, vcc, v6, v5, vcc
	global_load_dword v4, v[4:5], off
	s_waitcnt vmcnt(0)
	v_subrev_u32_e32 v4, s8, v4
	v_sub_u32_e32 v6, v4, v37
	v_cmp_gt_u32_e64 s[2:3], 32, v6
	v_cmp_lt_u32_e32 vcc, 31, v6
	s_and_saveexec_b64 s[20:21], vcc
	s_xor_b64 s[20:21], exec, s[20:21]
; %bb.15:                               ;   in Loop: Header=BB8_14 Depth=2
	v_min_i32_e32 v38, v4, v38
                                        ; implicit-def: $vgpr6
; %bb.16:                               ;   in Loop: Header=BB8_14 Depth=2
	s_andn2_saveexec_b64 s[20:21], s[20:21]
	s_cbranch_execz .LBB8_21
; %bb.17:                               ;   in Loop: Header=BB8_14 Depth=2
	v_lshlrev_b64 v[4:5], 3, v[16:17]
	v_mov_b32_e32 v7, s7
	v_add_co_u32_e32 v4, vcc, s6, v4
	v_addc_co_u32_e32 v5, vcc, v7, v5, vcc
	global_load_dwordx2 v[18:19], v[4:5], off
	v_add_u32_e32 v7, v20, v6
	v_lshlrev_b32_e32 v6, 5, v6
	s_and_b64 vcc, exec, s[0:1]
	v_add_u32_e32 v6, v21, v6
	s_mov_b64 s[28:29], -1
	ds_write_b8 v7, v34
	s_waitcnt vmcnt(0)
	v_mul_f64 v[18:19], v[8:9], v[18:19]
	ds_write_b64 v6, v[18:19]
	s_cbranch_vccnz .LBB8_19
; %bb.18:                               ;   in Loop: Header=BB8_14 Depth=2
	global_load_dwordx4 v[39:42], v[4:5], off offset:8
	global_load_dwordx2 v[18:19], v[4:5], off offset:24
	s_mov_b64 s[28:29], 0
	s_waitcnt vmcnt(1)
	v_mul_f64 v[41:42], v[8:9], v[41:42]
	v_mul_f64 v[39:40], v[8:9], v[39:40]
	s_waitcnt vmcnt(0)
	v_mul_f64 v[18:19], v[8:9], v[18:19]
	ds_write2_b64 v6, v[41:42], v[39:40] offset0:1 offset1:2
	ds_write_b64 v6, v[18:19] offset:24
.LBB8_19:                               ;   in Loop: Header=BB8_14 Depth=2
	s_andn2_b64 vcc, exec, s[28:29]
	s_cbranch_vccnz .LBB8_21
; %bb.20:                               ;   in Loop: Header=BB8_14 Depth=2
	global_load_dwordx4 v[39:42], v[4:5], off offset:8
	global_load_dwordx2 v[18:19], v[4:5], off offset:24
	s_waitcnt vmcnt(1)
	v_mul_f64 v[4:5], v[8:9], v[39:40]
	v_mul_f64 v[39:40], v[8:9], v[41:42]
	s_waitcnt vmcnt(0)
	v_mul_f64 v[18:19], v[8:9], v[18:19]
	ds_write2_b64 v6, v[4:5], v[39:40] offset0:1 offset1:2
	ds_write_b64 v6, v[18:19] offset:24
.LBB8_21:                               ;   in Loop: Header=BB8_14 Depth=2
	s_or_b64 exec, exec, s[20:21]
	s_mov_b64 s[20:21], -1
	s_and_saveexec_b64 s[28:29], s[2:3]
	s_cbranch_execz .LBB8_13
; %bb.22:                               ;   in Loop: Header=BB8_14 Depth=2
	v_add_u32_e32 v12, 32, v12
	v_cmp_ge_i32_e32 vcc, v12, v22
	v_add_u32_e32 v16, 0x80, v16
	s_orn2_b64 s[20:21], vcc, exec
	s_branch .LBB8_13
.LBB8_23:                               ;   in Loop: Header=BB8_11 Depth=1
	s_or_b64 exec, exec, s[12:13]
.LBB8_24:                               ;   in Loop: Header=BB8_11 Depth=1
	s_or_b64 exec, exec, s[10:11]
	v_cmp_lt_i32_e32 vcc, v14, v23
	s_waitcnt lgkmcnt(0)
	s_and_saveexec_b64 s[10:11], vcc
	s_cbranch_execz .LBB8_37
; %bb.25:                               ;   in Loop: Header=BB8_11 Depth=1
	v_lshlrev_b32_e32 v16, 2, v14
	s_mov_b64 s[12:13], 0
	s_branch .LBB8_27
.LBB8_26:                               ;   in Loop: Header=BB8_27 Depth=2
	s_or_b64 exec, exec, s[28:29]
	s_and_b64 s[2:3], exec, s[20:21]
	s_or_b64 s[12:13], s[2:3], s[12:13]
	s_andn2_b64 exec, exec, s[12:13]
	s_cbranch_execz .LBB8_36
.LBB8_27:                               ;   Parent Loop BB8_11 Depth=1
                                        ; =>  This Inner Loop Header: Depth=2
	v_ashrrev_i32_e32 v15, 31, v14
	v_lshlrev_b64 v[4:5], 2, v[14:15]
	v_mov_b32_e32 v6, s23
	v_add_co_u32_e32 v4, vcc, s22, v4
	v_addc_co_u32_e32 v5, vcc, v6, v5, vcc
	global_load_dword v4, v[4:5], off
	s_waitcnt vmcnt(0)
	v_subrev_u32_e32 v4, s9, v4
	v_sub_u32_e32 v15, v4, v37
	v_cmp_gt_u32_e64 s[2:3], 32, v15
	v_cmp_lt_u32_e32 vcc, 31, v15
	s_and_saveexec_b64 s[20:21], vcc
	s_xor_b64 s[20:21], exec, s[20:21]
; %bb.28:                               ;   in Loop: Header=BB8_27 Depth=2
	v_min_i32_e32 v38, v4, v38
                                        ; implicit-def: $vgpr15
; %bb.29:                               ;   in Loop: Header=BB8_27 Depth=2
	s_andn2_saveexec_b64 s[20:21], s[20:21]
	s_cbranch_execz .LBB8_34
; %bb.30:                               ;   in Loop: Header=BB8_27 Depth=2
	v_lshlrev_b64 v[4:5], 3, v[16:17]
	v_mov_b32_e32 v6, s17
	v_add_co_u32_e32 v18, vcc, s16, v4
	v_addc_co_u32_e32 v19, vcc, v6, v5, vcc
	global_load_dwordx2 v[39:40], v[18:19], off
	v_lshlrev_b32_e32 v4, 5, v15
	v_add_u32_e32 v13, v21, v4
	ds_read_b128 v[4:7], v13
	v_add_u32_e32 v15, v20, v15
	s_and_b64 vcc, exec, s[0:1]
	s_mov_b64 s[28:29], -1
	s_waitcnt vmcnt(0) lgkmcnt(0)
	v_fma_f64 v[4:5], v[10:11], v[39:40], v[4:5]
	ds_write_b8 v15, v34
	ds_write_b64 v13, v[4:5]
	s_cbranch_vccnz .LBB8_32
; %bb.31:                               ;   in Loop: Header=BB8_27 Depth=2
	global_load_dwordx4 v[39:42], v[18:19], off offset:8
	global_load_dwordx2 v[4:5], v[18:19], off offset:24
	ds_read_b128 v[43:46], v13 offset:16
	s_mov_b64 s[28:29], 0
	s_waitcnt vmcnt(1)
	v_fma_f64 v[41:42], v[10:11], v[41:42], v[6:7]
	s_waitcnt lgkmcnt(0)
	v_fma_f64 v[39:40], v[10:11], v[39:40], v[43:44]
	s_waitcnt vmcnt(0)
	v_fma_f64 v[4:5], v[10:11], v[4:5], v[45:46]
	ds_write2_b64 v13, v[41:42], v[39:40] offset0:1 offset1:2
	ds_write_b64 v13, v[4:5] offset:24
.LBB8_32:                               ;   in Loop: Header=BB8_27 Depth=2
	s_andn2_b64 vcc, exec, s[28:29]
	s_cbranch_vccnz .LBB8_34
; %bb.33:                               ;   in Loop: Header=BB8_27 Depth=2
	global_load_dwordx4 v[39:42], v[18:19], off offset:8
	global_load_dwordx2 v[4:5], v[18:19], off offset:24
	ds_read_b128 v[43:46], v13 offset:16
	s_waitcnt vmcnt(1)
	v_fma_f64 v[6:7], v[10:11], v[39:40], v[6:7]
	s_waitcnt lgkmcnt(0)
	v_fma_f64 v[18:19], v[10:11], v[41:42], v[43:44]
	s_waitcnt vmcnt(0)
	v_fma_f64 v[4:5], v[10:11], v[4:5], v[45:46]
	ds_write2_b64 v13, v[6:7], v[18:19] offset0:1 offset1:2
	ds_write_b64 v13, v[4:5] offset:24
.LBB8_34:                               ;   in Loop: Header=BB8_27 Depth=2
	s_or_b64 exec, exec, s[20:21]
	s_mov_b64 s[20:21], -1
	s_and_saveexec_b64 s[28:29], s[2:3]
	s_cbranch_execz .LBB8_26
; %bb.35:                               ;   in Loop: Header=BB8_27 Depth=2
	v_add_u32_e32 v14, 32, v14
	v_cmp_ge_i32_e32 vcc, v14, v23
	v_add_u32_e32 v16, 0x80, v16
	s_orn2_b64 s[20:21], vcc, exec
	s_branch .LBB8_26
.LBB8_36:                               ;   in Loop: Header=BB8_11 Depth=1
	s_or_b64 exec, exec, s[12:13]
.LBB8_37:                               ;   in Loop: Header=BB8_11 Depth=1
	s_or_b64 exec, exec, s[10:11]
	s_waitcnt lgkmcnt(0)
	ds_read_u8 v4, v33
	s_waitcnt lgkmcnt(0)
	v_and_b32_e32 v5, 1, v4
	v_cmp_eq_u32_e64 s[2:3], 1, v5
	v_cmp_ne_u16_e32 vcc, 0, v4
	s_and_saveexec_b64 s[10:11], s[2:3]
	s_cbranch_execz .LBB8_10
; %bb.38:                               ;   in Loop: Header=BB8_11 Depth=1
	v_and_b32_e32 v4, vcc_lo, v26
	v_bcnt_u32_b32 v4, v4, 0
	v_add3_u32 v15, v24, v4, -1
	v_ashrrev_i32_e32 v16, 31, v15
	v_lshlrev_b64 v[4:5], 2, v[15:16]
	v_mov_b32_e32 v6, s25
	v_add_co_u32_e64 v18, s[2:3], s24, v4
	v_addc_co_u32_e64 v19, s[2:3], v6, v5, s[2:3]
	ds_read2_b64 v[4:7], v25 offset1:3
	v_add_u32_e32 v13, v27, v37
	global_store_dword v[18:19], v13, off
	v_lshlrev_b32_e32 v16, 2, v15
	v_lshlrev_b64 v[15:16], 3, v[16:17]
	s_waitcnt lgkmcnt(0)
	v_mov_b32_e32 v39, v4
	v_mov_b32_e32 v40, v5
	ds_read_b64 v[41:42], v35
	ds_read_b64 v[4:5], v36
	v_mov_b32_e32 v13, s27
	v_add_co_u32_e64 v15, s[2:3], s26, v15
	v_addc_co_u32_e64 v16, s[2:3], v13, v16, s[2:3]
	s_waitcnt lgkmcnt(1)
	global_store_dwordx4 v[15:16], v[39:42], off
	s_waitcnt lgkmcnt(0)
	global_store_dwordx4 v[15:16], v[4:7], off offset:16
	s_branch .LBB8_10
.LBB8_39:
	s_endpgm
	.section	.rodata,"a",@progbits
	.p2align	6, 0x0
	.amdhsa_kernel _ZN9rocsparseL39bsrgeam_wf_per_row_multipass_2_3_kernelILj256ELj2ELj32EdEEv20rocsparse_direction_iiiNS_24const_host_device_scalarIT2_EEPKiS6_PKS3_S4_S6_S6_S8_S6_PiPS3_21rocsparse_index_base_SB_SB_b
		.amdhsa_group_segment_fixed_size 8448
		.amdhsa_private_segment_fixed_size 0
		.amdhsa_kernarg_size 120
		.amdhsa_user_sgpr_count 6
		.amdhsa_user_sgpr_private_segment_buffer 1
		.amdhsa_user_sgpr_dispatch_ptr 0
		.amdhsa_user_sgpr_queue_ptr 0
		.amdhsa_user_sgpr_kernarg_segment_ptr 1
		.amdhsa_user_sgpr_dispatch_id 0
		.amdhsa_user_sgpr_flat_scratch_init 0
		.amdhsa_user_sgpr_private_segment_size 0
		.amdhsa_uses_dynamic_stack 0
		.amdhsa_system_sgpr_private_segment_wavefront_offset 0
		.amdhsa_system_sgpr_workgroup_id_x 1
		.amdhsa_system_sgpr_workgroup_id_y 0
		.amdhsa_system_sgpr_workgroup_id_z 0
		.amdhsa_system_sgpr_workgroup_info 0
		.amdhsa_system_vgpr_workitem_id 0
		.amdhsa_next_free_vgpr 47
		.amdhsa_next_free_sgpr 77
		.amdhsa_reserve_vcc 1
		.amdhsa_reserve_flat_scratch 0
		.amdhsa_float_round_mode_32 0
		.amdhsa_float_round_mode_16_64 0
		.amdhsa_float_denorm_mode_32 3
		.amdhsa_float_denorm_mode_16_64 3
		.amdhsa_dx10_clamp 1
		.amdhsa_ieee_mode 1
		.amdhsa_fp16_overflow 0
		.amdhsa_exception_fp_ieee_invalid_op 0
		.amdhsa_exception_fp_denorm_src 0
		.amdhsa_exception_fp_ieee_div_zero 0
		.amdhsa_exception_fp_ieee_overflow 0
		.amdhsa_exception_fp_ieee_underflow 0
		.amdhsa_exception_fp_ieee_inexact 0
		.amdhsa_exception_int_div_zero 0
	.end_amdhsa_kernel
	.section	.text._ZN9rocsparseL39bsrgeam_wf_per_row_multipass_2_3_kernelILj256ELj2ELj32EdEEv20rocsparse_direction_iiiNS_24const_host_device_scalarIT2_EEPKiS6_PKS3_S4_S6_S6_S8_S6_PiPS3_21rocsparse_index_base_SB_SB_b,"axG",@progbits,_ZN9rocsparseL39bsrgeam_wf_per_row_multipass_2_3_kernelILj256ELj2ELj32EdEEv20rocsparse_direction_iiiNS_24const_host_device_scalarIT2_EEPKiS6_PKS3_S4_S6_S6_S8_S6_PiPS3_21rocsparse_index_base_SB_SB_b,comdat
.Lfunc_end8:
	.size	_ZN9rocsparseL39bsrgeam_wf_per_row_multipass_2_3_kernelILj256ELj2ELj32EdEEv20rocsparse_direction_iiiNS_24const_host_device_scalarIT2_EEPKiS6_PKS3_S4_S6_S6_S8_S6_PiPS3_21rocsparse_index_base_SB_SB_b, .Lfunc_end8-_ZN9rocsparseL39bsrgeam_wf_per_row_multipass_2_3_kernelILj256ELj2ELj32EdEEv20rocsparse_direction_iiiNS_24const_host_device_scalarIT2_EEPKiS6_PKS3_S4_S6_S6_S8_S6_PiPS3_21rocsparse_index_base_SB_SB_b
                                        ; -- End function
	.set _ZN9rocsparseL39bsrgeam_wf_per_row_multipass_2_3_kernelILj256ELj2ELj32EdEEv20rocsparse_direction_iiiNS_24const_host_device_scalarIT2_EEPKiS6_PKS3_S4_S6_S6_S8_S6_PiPS3_21rocsparse_index_base_SB_SB_b.num_vgpr, 47
	.set _ZN9rocsparseL39bsrgeam_wf_per_row_multipass_2_3_kernelILj256ELj2ELj32EdEEv20rocsparse_direction_iiiNS_24const_host_device_scalarIT2_EEPKiS6_PKS3_S4_S6_S6_S8_S6_PiPS3_21rocsparse_index_base_SB_SB_b.num_agpr, 0
	.set _ZN9rocsparseL39bsrgeam_wf_per_row_multipass_2_3_kernelILj256ELj2ELj32EdEEv20rocsparse_direction_iiiNS_24const_host_device_scalarIT2_EEPKiS6_PKS3_S4_S6_S6_S8_S6_PiPS3_21rocsparse_index_base_SB_SB_b.numbered_sgpr, 30
	.set _ZN9rocsparseL39bsrgeam_wf_per_row_multipass_2_3_kernelILj256ELj2ELj32EdEEv20rocsparse_direction_iiiNS_24const_host_device_scalarIT2_EEPKiS6_PKS3_S4_S6_S6_S8_S6_PiPS3_21rocsparse_index_base_SB_SB_b.num_named_barrier, 0
	.set _ZN9rocsparseL39bsrgeam_wf_per_row_multipass_2_3_kernelILj256ELj2ELj32EdEEv20rocsparse_direction_iiiNS_24const_host_device_scalarIT2_EEPKiS6_PKS3_S4_S6_S6_S8_S6_PiPS3_21rocsparse_index_base_SB_SB_b.private_seg_size, 0
	.set _ZN9rocsparseL39bsrgeam_wf_per_row_multipass_2_3_kernelILj256ELj2ELj32EdEEv20rocsparse_direction_iiiNS_24const_host_device_scalarIT2_EEPKiS6_PKS3_S4_S6_S6_S8_S6_PiPS3_21rocsparse_index_base_SB_SB_b.uses_vcc, 1
	.set _ZN9rocsparseL39bsrgeam_wf_per_row_multipass_2_3_kernelILj256ELj2ELj32EdEEv20rocsparse_direction_iiiNS_24const_host_device_scalarIT2_EEPKiS6_PKS3_S4_S6_S6_S8_S6_PiPS3_21rocsparse_index_base_SB_SB_b.uses_flat_scratch, 0
	.set _ZN9rocsparseL39bsrgeam_wf_per_row_multipass_2_3_kernelILj256ELj2ELj32EdEEv20rocsparse_direction_iiiNS_24const_host_device_scalarIT2_EEPKiS6_PKS3_S4_S6_S6_S8_S6_PiPS3_21rocsparse_index_base_SB_SB_b.has_dyn_sized_stack, 0
	.set _ZN9rocsparseL39bsrgeam_wf_per_row_multipass_2_3_kernelILj256ELj2ELj32EdEEv20rocsparse_direction_iiiNS_24const_host_device_scalarIT2_EEPKiS6_PKS3_S4_S6_S6_S8_S6_PiPS3_21rocsparse_index_base_SB_SB_b.has_recursion, 0
	.set _ZN9rocsparseL39bsrgeam_wf_per_row_multipass_2_3_kernelILj256ELj2ELj32EdEEv20rocsparse_direction_iiiNS_24const_host_device_scalarIT2_EEPKiS6_PKS3_S4_S6_S6_S8_S6_PiPS3_21rocsparse_index_base_SB_SB_b.has_indirect_call, 0
	.section	.AMDGPU.csdata,"",@progbits
; Kernel info:
; codeLenInByte = 1792
; TotalNumSgprs: 34
; NumVgprs: 47
; ScratchSize: 0
; MemoryBound: 0
; FloatMode: 240
; IeeeMode: 1
; LDSByteSize: 8448 bytes/workgroup (compile time only)
; SGPRBlocks: 10
; VGPRBlocks: 11
; NumSGPRsForWavesPerEU: 81
; NumVGPRsForWavesPerEU: 47
; Occupancy: 5
; WaveLimiterHint : 1
; COMPUTE_PGM_RSRC2:SCRATCH_EN: 0
; COMPUTE_PGM_RSRC2:USER_SGPR: 6
; COMPUTE_PGM_RSRC2:TRAP_HANDLER: 0
; COMPUTE_PGM_RSRC2:TGID_X_EN: 1
; COMPUTE_PGM_RSRC2:TGID_Y_EN: 0
; COMPUTE_PGM_RSRC2:TGID_Z_EN: 0
; COMPUTE_PGM_RSRC2:TIDIG_COMP_CNT: 0
	.section	.text._ZN9rocsparseL39bsrgeam_wf_per_row_multipass_2_3_kernelILj256ELj2ELj64EdEEv20rocsparse_direction_iiiNS_24const_host_device_scalarIT2_EEPKiS6_PKS3_S4_S6_S6_S8_S6_PiPS3_21rocsparse_index_base_SB_SB_b,"axG",@progbits,_ZN9rocsparseL39bsrgeam_wf_per_row_multipass_2_3_kernelILj256ELj2ELj64EdEEv20rocsparse_direction_iiiNS_24const_host_device_scalarIT2_EEPKiS6_PKS3_S4_S6_S6_S8_S6_PiPS3_21rocsparse_index_base_SB_SB_b,comdat
	.globl	_ZN9rocsparseL39bsrgeam_wf_per_row_multipass_2_3_kernelILj256ELj2ELj64EdEEv20rocsparse_direction_iiiNS_24const_host_device_scalarIT2_EEPKiS6_PKS3_S4_S6_S6_S8_S6_PiPS3_21rocsparse_index_base_SB_SB_b ; -- Begin function _ZN9rocsparseL39bsrgeam_wf_per_row_multipass_2_3_kernelILj256ELj2ELj64EdEEv20rocsparse_direction_iiiNS_24const_host_device_scalarIT2_EEPKiS6_PKS3_S4_S6_S6_S8_S6_PiPS3_21rocsparse_index_base_SB_SB_b
	.p2align	8
	.type	_ZN9rocsparseL39bsrgeam_wf_per_row_multipass_2_3_kernelILj256ELj2ELj64EdEEv20rocsparse_direction_iiiNS_24const_host_device_scalarIT2_EEPKiS6_PKS3_S4_S6_S6_S8_S6_PiPS3_21rocsparse_index_base_SB_SB_b,@function
_ZN9rocsparseL39bsrgeam_wf_per_row_multipass_2_3_kernelILj256ELj2ELj64EdEEv20rocsparse_direction_iiiNS_24const_host_device_scalarIT2_EEPKiS6_PKS3_S4_S6_S6_S8_S6_PiPS3_21rocsparse_index_base_SB_SB_b: ; @_ZN9rocsparseL39bsrgeam_wf_per_row_multipass_2_3_kernelILj256ELj2ELj64EdEEv20rocsparse_direction_iiiNS_24const_host_device_scalarIT2_EEPKiS6_PKS3_S4_S6_S6_S8_S6_PiPS3_21rocsparse_index_base_SB_SB_b
; %bb.0:
	s_load_dwordx4 s[8:11], s[4:5], 0x68
	s_load_dwordx2 s[12:13], s[4:5], 0x10
	s_load_dwordx2 s[0:1], s[4:5], 0x30
	s_waitcnt lgkmcnt(0)
	s_bitcmp1_b32 s11, 0
	s_cselect_b64 s[14:15], -1, 0
	v_mov_b32_e32 v8, s12
	s_xor_b64 s[2:3], s[14:15], -1
	s_and_b64 vcc, exec, s[14:15]
	v_mov_b32_e32 v9, s13
	s_cbranch_vccnz .LBB9_2
; %bb.1:
	v_mov_b32_e32 v1, s12
	v_mov_b32_e32 v2, s13
	flat_load_dwordx2 v[8:9], v[1:2]
.LBB9_2:
	v_mov_b32_e32 v11, s1
	s_andn2_b64 vcc, exec, s[2:3]
	v_mov_b32_e32 v10, s0
	s_cbranch_vccnz .LBB9_4
; %bb.3:
	v_mov_b32_e32 v2, s1
	v_mov_b32_e32 v1, s0
	flat_load_dwordx2 v[10:11], v[1:2]
.LBB9_4:
	s_load_dwordx4 s[12:15], s[4:5], 0x0
	s_lshl_b32 s0, s6, 2
	v_lshrrev_b32_e32 v12, 6, v0
	s_and_b32 s0, s0, 0x3fffffc
	v_or_b32_e32 v1, s0, v12
	s_waitcnt lgkmcnt(0)
	v_cmp_gt_i32_e32 vcc, s13, v1
	s_and_saveexec_b64 s[0:1], vcc
	s_cbranch_execz .LBB9_39
; %bb.5:
	s_load_dwordx4 s[16:19], s[4:5], 0x18
	s_load_dwordx4 s[20:23], s[4:5], 0x38
	s_load_dwordx2 s[0:1], s[4:5], 0x50
	v_lshlrev_b32_e32 v5, 2, v1
	s_waitcnt lgkmcnt(0)
	global_load_dwordx2 v[1:2], v5, s[16:17]
	global_load_dwordx2 v[3:4], v5, s[20:21]
	global_load_dword v13, v5, s[0:1]
	s_waitcnt vmcnt(0)
	v_subrev_u32_e32 v5, s8, v1
	v_cmp_lt_i32_e32 vcc, v1, v2
	v_mov_b32_e32 v1, s14
	s_and_saveexec_b64 s[0:1], vcc
	s_cbranch_execz .LBB9_7
; %bb.6:
	v_ashrrev_i32_e32 v6, 31, v5
	v_lshlrev_b64 v[6:7], 2, v[5:6]
	v_mov_b32_e32 v1, s19
	v_add_co_u32_e32 v6, vcc, s18, v6
	v_addc_co_u32_e32 v7, vcc, v1, v7, vcc
	global_load_dword v1, v[6:7], off
	s_waitcnt vmcnt(0)
	v_subrev_u32_e32 v1, s8, v1
.LBB9_7:
	s_or_b64 exec, exec, s[0:1]
	s_load_dwordx4 s[24:27], s[4:5], 0x58
	s_load_dwordx2 s[6:7], s[4:5], 0x28
	s_load_dwordx2 s[16:17], s[4:5], 0x48
	v_subrev_u32_e32 v6, s9, v3
	v_cmp_lt_i32_e32 vcc, v3, v4
	v_mov_b32_e32 v3, s14
	s_and_saveexec_b64 s[0:1], vcc
	s_cbranch_execz .LBB9_9
; %bb.8:
	v_ashrrev_i32_e32 v7, 31, v6
	v_lshlrev_b64 v[14:15], 2, v[6:7]
	v_mov_b32_e32 v3, s23
	v_add_co_u32_e32 v14, vcc, s22, v14
	v_addc_co_u32_e32 v15, vcc, v3, v15, vcc
	global_load_dword v3, v[14:15], off
	s_waitcnt vmcnt(0)
	v_subrev_u32_e32 v3, s9, v3
.LBB9_9:
	s_or_b64 exec, exec, s[0:1]
	v_min_i32_e32 v39, v3, v1
	v_mbcnt_lo_u32_b32 v1, -1, 0
	v_and_b32_e32 v7, 0xc0, v0
	v_and_b32_e32 v0, 63, v0
	v_mbcnt_hi_u32_b32 v1, -1, v1
	v_subrev_u32_e32 v24, s8, v2
	v_and_b32_e32 v2, 64, v1
	v_xor_b32_e32 v3, 63, v0
	v_add_u32_e32 v2, 64, v2
	v_lshrrev_b64 v[16:17], v3, -1
	v_xor_b32_e32 v3, 32, v1
	v_cmp_lt_i32_e32 vcc, v3, v2
	v_cndmask_b32_e32 v3, v1, v3, vcc
	v_lshlrev_b32_e32 v29, 2, v3
	v_xor_b32_e32 v3, 16, v1
	v_cmp_lt_i32_e32 vcc, v3, v2
	v_cndmask_b32_e32 v3, v1, v3, vcc
	v_lshlrev_b32_e32 v30, 2, v3
	;; [unrolled: 4-line block ×5, first 2 shown]
	v_xor_b32_e32 v3, 1, v1
	s_cmp_lg_u32 s12, 0
	v_cmp_lt_i32_e32 vcc, v3, v2
	v_or_b32_e32 v22, 0x2000, v7
	v_lshlrev_b32_e32 v23, 11, v12
	s_mov_b32 s0, 0
	s_cselect_b64 s[20:21], -1, 0
	s_cmp_eq_u32 s12, 0
	v_cndmask_b32_e32 v1, v1, v3, vcc
	v_subrev_u32_e32 v25, s9, v4
	v_subrev_u32_e32 v26, s10, v13
	v_add_u32_e32 v12, v5, v0
	v_add_u32_e32 v14, v6, v0
	v_lshl_or_b32 v27, v0, 5, v23
	v_add_u32_e32 v28, s10, v0
	v_lshlrev_b32_e32 v34, 2, v1
	s_cselect_b32 s10, 8, 16
	s_cselect_b32 s11, 16, 8
	v_add_u32_e32 v35, v22, v0
	s_mov_b32 s1, s0
	s_mov_b32 s2, s0
	;; [unrolled: 1-line block ×3, first 2 shown]
	v_mov_b32_e32 v0, s0
	v_cndmask_b32_e64 v4, 0, 1, s[20:21]
	s_mov_b64 s[4:5], 0
	v_mov_b32_e32 v19, 0
	v_mov_b32_e32 v1, s1
	;; [unrolled: 1-line block ×5, first 2 shown]
	v_cmp_ne_u32_e64 s[0:1], 1, v4
	v_add_u32_e32 v37, s10, v27
	v_add_u32_e32 v38, s11, v27
	s_branch .LBB9_11
.LBB9_10:                               ;   in Loop: Header=BB9_11 Depth=1
	s_or_b64 exec, exec, s[10:11]
	ds_bpermute_b32 v4, v29, v40
	s_bcnt1_i32_b64 s2, vcc
	v_add_u32_e32 v26, s2, v26
	s_waitcnt lgkmcnt(0)
	v_min_i32_e32 v4, v4, v40
	ds_bpermute_b32 v5, v30, v4
	s_waitcnt lgkmcnt(0)
	v_min_i32_e32 v4, v5, v4
	ds_bpermute_b32 v5, v31, v4
	;; [unrolled: 3-line block ×5, first 2 shown]
	s_waitcnt lgkmcnt(0)
	v_min_i32_e32 v39, v5, v4
	v_cmp_le_i32_e32 vcc, s14, v39
	s_or_b64 s[4:5], vcc, s[4:5]
	s_andn2_b64 exec, exec, s[4:5]
	s_cbranch_execz .LBB9_39
.LBB9_11:                               ; =>This Loop Header: Depth=1
                                        ;     Child Loop BB9_14 Depth 2
                                        ;     Child Loop BB9_27 Depth 2
	v_cmp_lt_i32_e32 vcc, v12, v24
	v_mov_b32_e32 v40, s14
	ds_write_b8 v35, v19
	ds_write_b128 v27, v[0:3]
	ds_write_b128 v27, v[0:3] offset:16
	s_waitcnt lgkmcnt(0)
	s_and_saveexec_b64 s[10:11], vcc
	s_cbranch_execz .LBB9_24
; %bb.12:                               ;   in Loop: Header=BB9_11 Depth=1
	v_lshlrev_b32_e32 v18, 2, v12
	s_mov_b64 s[12:13], 0
	v_mov_b32_e32 v40, s14
	s_branch .LBB9_14
.LBB9_13:                               ;   in Loop: Header=BB9_14 Depth=2
	s_or_b64 exec, exec, s[28:29]
	s_and_b64 s[2:3], exec, s[20:21]
	s_or_b64 s[12:13], s[2:3], s[12:13]
	s_andn2_b64 exec, exec, s[12:13]
	s_cbranch_execz .LBB9_23
.LBB9_14:                               ;   Parent Loop BB9_11 Depth=1
                                        ; =>  This Inner Loop Header: Depth=2
	v_ashrrev_i32_e32 v13, 31, v12
	v_lshlrev_b64 v[4:5], 2, v[12:13]
	v_mov_b32_e32 v6, s19
	v_add_co_u32_e32 v4, vcc, s18, v4
	v_addc_co_u32_e32 v5, vcc, v6, v5, vcc
	global_load_dword v4, v[4:5], off
	s_waitcnt vmcnt(0)
	v_subrev_u32_e32 v4, s8, v4
	v_sub_u32_e32 v6, v4, v39
	v_cmp_gt_u32_e64 s[2:3], 64, v6
	v_cmp_lt_u32_e32 vcc, 63, v6
	s_and_saveexec_b64 s[20:21], vcc
	s_xor_b64 s[20:21], exec, s[20:21]
; %bb.15:                               ;   in Loop: Header=BB9_14 Depth=2
	v_min_i32_e32 v40, v4, v40
                                        ; implicit-def: $vgpr6
; %bb.16:                               ;   in Loop: Header=BB9_14 Depth=2
	s_andn2_saveexec_b64 s[20:21], s[20:21]
	s_cbranch_execz .LBB9_21
; %bb.17:                               ;   in Loop: Header=BB9_14 Depth=2
	v_lshlrev_b64 v[4:5], 3, v[18:19]
	v_mov_b32_e32 v7, s7
	v_add_co_u32_e32 v4, vcc, s6, v4
	v_addc_co_u32_e32 v5, vcc, v7, v5, vcc
	global_load_dwordx2 v[20:21], v[4:5], off
	v_add_u32_e32 v7, v22, v6
	v_lshlrev_b32_e32 v6, 5, v6
	s_and_b64 vcc, exec, s[0:1]
	v_add_u32_e32 v6, v23, v6
	s_mov_b64 s[28:29], -1
	ds_write_b8 v7, v36
	s_waitcnt vmcnt(0)
	v_mul_f64 v[20:21], v[8:9], v[20:21]
	ds_write_b64 v6, v[20:21]
	s_cbranch_vccnz .LBB9_19
; %bb.18:                               ;   in Loop: Header=BB9_14 Depth=2
	global_load_dwordx4 v[41:44], v[4:5], off offset:8
	global_load_dwordx2 v[20:21], v[4:5], off offset:24
	s_mov_b64 s[28:29], 0
	s_waitcnt vmcnt(1)
	v_mul_f64 v[43:44], v[8:9], v[43:44]
	v_mul_f64 v[41:42], v[8:9], v[41:42]
	s_waitcnt vmcnt(0)
	v_mul_f64 v[20:21], v[8:9], v[20:21]
	ds_write2_b64 v6, v[43:44], v[41:42] offset0:1 offset1:2
	ds_write_b64 v6, v[20:21] offset:24
.LBB9_19:                               ;   in Loop: Header=BB9_14 Depth=2
	s_andn2_b64 vcc, exec, s[28:29]
	s_cbranch_vccnz .LBB9_21
; %bb.20:                               ;   in Loop: Header=BB9_14 Depth=2
	global_load_dwordx4 v[41:44], v[4:5], off offset:8
	global_load_dwordx2 v[20:21], v[4:5], off offset:24
	s_waitcnt vmcnt(1)
	v_mul_f64 v[4:5], v[8:9], v[41:42]
	v_mul_f64 v[41:42], v[8:9], v[43:44]
	s_waitcnt vmcnt(0)
	v_mul_f64 v[20:21], v[8:9], v[20:21]
	ds_write2_b64 v6, v[4:5], v[41:42] offset0:1 offset1:2
	ds_write_b64 v6, v[20:21] offset:24
.LBB9_21:                               ;   in Loop: Header=BB9_14 Depth=2
	s_or_b64 exec, exec, s[20:21]
	s_mov_b64 s[20:21], -1
	s_and_saveexec_b64 s[28:29], s[2:3]
	s_cbranch_execz .LBB9_13
; %bb.22:                               ;   in Loop: Header=BB9_14 Depth=2
	v_add_u32_e32 v12, 64, v12
	v_cmp_ge_i32_e32 vcc, v12, v24
	v_add_u32_e32 v18, 0x100, v18
	s_orn2_b64 s[20:21], vcc, exec
	s_branch .LBB9_13
.LBB9_23:                               ;   in Loop: Header=BB9_11 Depth=1
	s_or_b64 exec, exec, s[12:13]
.LBB9_24:                               ;   in Loop: Header=BB9_11 Depth=1
	s_or_b64 exec, exec, s[10:11]
	v_cmp_lt_i32_e32 vcc, v14, v25
	s_waitcnt lgkmcnt(0)
	s_and_saveexec_b64 s[10:11], vcc
	s_cbranch_execz .LBB9_37
; %bb.25:                               ;   in Loop: Header=BB9_11 Depth=1
	v_lshlrev_b32_e32 v18, 2, v14
	s_mov_b64 s[12:13], 0
	s_branch .LBB9_27
.LBB9_26:                               ;   in Loop: Header=BB9_27 Depth=2
	s_or_b64 exec, exec, s[28:29]
	s_and_b64 s[2:3], exec, s[20:21]
	s_or_b64 s[12:13], s[2:3], s[12:13]
	s_andn2_b64 exec, exec, s[12:13]
	s_cbranch_execz .LBB9_36
.LBB9_27:                               ;   Parent Loop BB9_11 Depth=1
                                        ; =>  This Inner Loop Header: Depth=2
	v_ashrrev_i32_e32 v15, 31, v14
	v_lshlrev_b64 v[4:5], 2, v[14:15]
	v_mov_b32_e32 v6, s23
	v_add_co_u32_e32 v4, vcc, s22, v4
	v_addc_co_u32_e32 v5, vcc, v6, v5, vcc
	global_load_dword v4, v[4:5], off
	s_waitcnt vmcnt(0)
	v_subrev_u32_e32 v4, s9, v4
	v_sub_u32_e32 v15, v4, v39
	v_cmp_gt_u32_e64 s[2:3], 64, v15
	v_cmp_lt_u32_e32 vcc, 63, v15
	s_and_saveexec_b64 s[20:21], vcc
	s_xor_b64 s[20:21], exec, s[20:21]
; %bb.28:                               ;   in Loop: Header=BB9_27 Depth=2
	v_min_i32_e32 v40, v4, v40
                                        ; implicit-def: $vgpr15
; %bb.29:                               ;   in Loop: Header=BB9_27 Depth=2
	s_andn2_saveexec_b64 s[20:21], s[20:21]
	s_cbranch_execz .LBB9_34
; %bb.30:                               ;   in Loop: Header=BB9_27 Depth=2
	v_lshlrev_b64 v[4:5], 3, v[18:19]
	v_mov_b32_e32 v6, s17
	v_add_co_u32_e32 v20, vcc, s16, v4
	v_addc_co_u32_e32 v21, vcc, v6, v5, vcc
	global_load_dwordx2 v[41:42], v[20:21], off
	v_lshlrev_b32_e32 v4, 5, v15
	v_add_u32_e32 v13, v23, v4
	ds_read_b128 v[4:7], v13
	v_add_u32_e32 v15, v22, v15
	s_and_b64 vcc, exec, s[0:1]
	s_mov_b64 s[28:29], -1
	s_waitcnt vmcnt(0) lgkmcnt(0)
	v_fma_f64 v[4:5], v[10:11], v[41:42], v[4:5]
	ds_write_b8 v15, v36
	ds_write_b64 v13, v[4:5]
	s_cbranch_vccnz .LBB9_32
; %bb.31:                               ;   in Loop: Header=BB9_27 Depth=2
	global_load_dwordx4 v[41:44], v[20:21], off offset:8
	global_load_dwordx2 v[4:5], v[20:21], off offset:24
	ds_read_b128 v[45:48], v13 offset:16
	s_mov_b64 s[28:29], 0
	s_waitcnt vmcnt(1)
	v_fma_f64 v[43:44], v[10:11], v[43:44], v[6:7]
	s_waitcnt lgkmcnt(0)
	v_fma_f64 v[41:42], v[10:11], v[41:42], v[45:46]
	s_waitcnt vmcnt(0)
	v_fma_f64 v[4:5], v[10:11], v[4:5], v[47:48]
	ds_write2_b64 v13, v[43:44], v[41:42] offset0:1 offset1:2
	ds_write_b64 v13, v[4:5] offset:24
.LBB9_32:                               ;   in Loop: Header=BB9_27 Depth=2
	s_andn2_b64 vcc, exec, s[28:29]
	s_cbranch_vccnz .LBB9_34
; %bb.33:                               ;   in Loop: Header=BB9_27 Depth=2
	global_load_dwordx4 v[41:44], v[20:21], off offset:8
	global_load_dwordx2 v[4:5], v[20:21], off offset:24
	ds_read_b128 v[45:48], v13 offset:16
	s_waitcnt vmcnt(1)
	v_fma_f64 v[6:7], v[10:11], v[41:42], v[6:7]
	s_waitcnt lgkmcnt(0)
	v_fma_f64 v[20:21], v[10:11], v[43:44], v[45:46]
	s_waitcnt vmcnt(0)
	v_fma_f64 v[4:5], v[10:11], v[4:5], v[47:48]
	ds_write2_b64 v13, v[6:7], v[20:21] offset0:1 offset1:2
	ds_write_b64 v13, v[4:5] offset:24
.LBB9_34:                               ;   in Loop: Header=BB9_27 Depth=2
	s_or_b64 exec, exec, s[20:21]
	s_mov_b64 s[20:21], -1
	s_and_saveexec_b64 s[28:29], s[2:3]
	s_cbranch_execz .LBB9_26
; %bb.35:                               ;   in Loop: Header=BB9_27 Depth=2
	v_add_u32_e32 v14, 64, v14
	v_cmp_ge_i32_e32 vcc, v14, v25
	v_add_u32_e32 v18, 0x100, v18
	s_orn2_b64 s[20:21], vcc, exec
	s_branch .LBB9_26
.LBB9_36:                               ;   in Loop: Header=BB9_11 Depth=1
	s_or_b64 exec, exec, s[12:13]
.LBB9_37:                               ;   in Loop: Header=BB9_11 Depth=1
	s_or_b64 exec, exec, s[10:11]
	s_waitcnt lgkmcnt(0)
	ds_read_u8 v4, v35
	s_waitcnt lgkmcnt(0)
	v_and_b32_e32 v5, 1, v4
	v_cmp_eq_u32_e64 s[2:3], 1, v5
	v_cmp_ne_u16_e32 vcc, 0, v4
	s_and_saveexec_b64 s[10:11], s[2:3]
	s_cbranch_execz .LBB9_10
; %bb.38:                               ;   in Loop: Header=BB9_11 Depth=1
	v_and_b32_e32 v5, vcc_lo, v16
	v_and_b32_e32 v4, vcc_hi, v17
	v_bcnt_u32_b32 v5, v5, 0
	v_bcnt_u32_b32 v4, v4, v5
	v_add3_u32 v20, v26, v4, -1
	v_ashrrev_i32_e32 v21, 31, v20
	v_lshlrev_b64 v[4:5], 2, v[20:21]
	v_mov_b32_e32 v6, s25
	v_add_co_u32_e64 v41, s[2:3], s24, v4
	v_addc_co_u32_e64 v42, s[2:3], v6, v5, s[2:3]
	ds_read2_b64 v[4:7], v27 offset1:3
	v_add_u32_e32 v13, v28, v39
	global_store_dword v[41:42], v13, off
	v_lshlrev_b32_e32 v18, 2, v20
	v_lshlrev_b64 v[20:21], 3, v[18:19]
	s_waitcnt lgkmcnt(0)
	v_mov_b32_e32 v41, v4
	v_mov_b32_e32 v42, v5
	ds_read_b64 v[43:44], v37
	ds_read_b64 v[4:5], v38
	v_mov_b32_e32 v13, s27
	v_add_co_u32_e64 v20, s[2:3], s26, v20
	v_addc_co_u32_e64 v21, s[2:3], v13, v21, s[2:3]
	s_waitcnt lgkmcnt(1)
	global_store_dwordx4 v[20:21], v[41:44], off
	s_waitcnt lgkmcnt(0)
	global_store_dwordx4 v[20:21], v[4:7], off offset:16
	s_branch .LBB9_10
.LBB9_39:
	s_endpgm
	.section	.rodata,"a",@progbits
	.p2align	6, 0x0
	.amdhsa_kernel _ZN9rocsparseL39bsrgeam_wf_per_row_multipass_2_3_kernelILj256ELj2ELj64EdEEv20rocsparse_direction_iiiNS_24const_host_device_scalarIT2_EEPKiS6_PKS3_S4_S6_S6_S8_S6_PiPS3_21rocsparse_index_base_SB_SB_b
		.amdhsa_group_segment_fixed_size 8448
		.amdhsa_private_segment_fixed_size 0
		.amdhsa_kernarg_size 120
		.amdhsa_user_sgpr_count 6
		.amdhsa_user_sgpr_private_segment_buffer 1
		.amdhsa_user_sgpr_dispatch_ptr 0
		.amdhsa_user_sgpr_queue_ptr 0
		.amdhsa_user_sgpr_kernarg_segment_ptr 1
		.amdhsa_user_sgpr_dispatch_id 0
		.amdhsa_user_sgpr_flat_scratch_init 0
		.amdhsa_user_sgpr_private_segment_size 0
		.amdhsa_uses_dynamic_stack 0
		.amdhsa_system_sgpr_private_segment_wavefront_offset 0
		.amdhsa_system_sgpr_workgroup_id_x 1
		.amdhsa_system_sgpr_workgroup_id_y 0
		.amdhsa_system_sgpr_workgroup_id_z 0
		.amdhsa_system_sgpr_workgroup_info 0
		.amdhsa_system_vgpr_workitem_id 0
		.amdhsa_next_free_vgpr 49
		.amdhsa_next_free_sgpr 77
		.amdhsa_reserve_vcc 1
		.amdhsa_reserve_flat_scratch 0
		.amdhsa_float_round_mode_32 0
		.amdhsa_float_round_mode_16_64 0
		.amdhsa_float_denorm_mode_32 3
		.amdhsa_float_denorm_mode_16_64 3
		.amdhsa_dx10_clamp 1
		.amdhsa_ieee_mode 1
		.amdhsa_fp16_overflow 0
		.amdhsa_exception_fp_ieee_invalid_op 0
		.amdhsa_exception_fp_denorm_src 0
		.amdhsa_exception_fp_ieee_div_zero 0
		.amdhsa_exception_fp_ieee_overflow 0
		.amdhsa_exception_fp_ieee_underflow 0
		.amdhsa_exception_fp_ieee_inexact 0
		.amdhsa_exception_int_div_zero 0
	.end_amdhsa_kernel
	.section	.text._ZN9rocsparseL39bsrgeam_wf_per_row_multipass_2_3_kernelILj256ELj2ELj64EdEEv20rocsparse_direction_iiiNS_24const_host_device_scalarIT2_EEPKiS6_PKS3_S4_S6_S6_S8_S6_PiPS3_21rocsparse_index_base_SB_SB_b,"axG",@progbits,_ZN9rocsparseL39bsrgeam_wf_per_row_multipass_2_3_kernelILj256ELj2ELj64EdEEv20rocsparse_direction_iiiNS_24const_host_device_scalarIT2_EEPKiS6_PKS3_S4_S6_S6_S8_S6_PiPS3_21rocsparse_index_base_SB_SB_b,comdat
.Lfunc_end9:
	.size	_ZN9rocsparseL39bsrgeam_wf_per_row_multipass_2_3_kernelILj256ELj2ELj64EdEEv20rocsparse_direction_iiiNS_24const_host_device_scalarIT2_EEPKiS6_PKS3_S4_S6_S6_S8_S6_PiPS3_21rocsparse_index_base_SB_SB_b, .Lfunc_end9-_ZN9rocsparseL39bsrgeam_wf_per_row_multipass_2_3_kernelILj256ELj2ELj64EdEEv20rocsparse_direction_iiiNS_24const_host_device_scalarIT2_EEPKiS6_PKS3_S4_S6_S6_S8_S6_PiPS3_21rocsparse_index_base_SB_SB_b
                                        ; -- End function
	.set _ZN9rocsparseL39bsrgeam_wf_per_row_multipass_2_3_kernelILj256ELj2ELj64EdEEv20rocsparse_direction_iiiNS_24const_host_device_scalarIT2_EEPKiS6_PKS3_S4_S6_S6_S8_S6_PiPS3_21rocsparse_index_base_SB_SB_b.num_vgpr, 49
	.set _ZN9rocsparseL39bsrgeam_wf_per_row_multipass_2_3_kernelILj256ELj2ELj64EdEEv20rocsparse_direction_iiiNS_24const_host_device_scalarIT2_EEPKiS6_PKS3_S4_S6_S6_S8_S6_PiPS3_21rocsparse_index_base_SB_SB_b.num_agpr, 0
	.set _ZN9rocsparseL39bsrgeam_wf_per_row_multipass_2_3_kernelILj256ELj2ELj64EdEEv20rocsparse_direction_iiiNS_24const_host_device_scalarIT2_EEPKiS6_PKS3_S4_S6_S6_S8_S6_PiPS3_21rocsparse_index_base_SB_SB_b.numbered_sgpr, 30
	.set _ZN9rocsparseL39bsrgeam_wf_per_row_multipass_2_3_kernelILj256ELj2ELj64EdEEv20rocsparse_direction_iiiNS_24const_host_device_scalarIT2_EEPKiS6_PKS3_S4_S6_S6_S8_S6_PiPS3_21rocsparse_index_base_SB_SB_b.num_named_barrier, 0
	.set _ZN9rocsparseL39bsrgeam_wf_per_row_multipass_2_3_kernelILj256ELj2ELj64EdEEv20rocsparse_direction_iiiNS_24const_host_device_scalarIT2_EEPKiS6_PKS3_S4_S6_S6_S8_S6_PiPS3_21rocsparse_index_base_SB_SB_b.private_seg_size, 0
	.set _ZN9rocsparseL39bsrgeam_wf_per_row_multipass_2_3_kernelILj256ELj2ELj64EdEEv20rocsparse_direction_iiiNS_24const_host_device_scalarIT2_EEPKiS6_PKS3_S4_S6_S6_S8_S6_PiPS3_21rocsparse_index_base_SB_SB_b.uses_vcc, 1
	.set _ZN9rocsparseL39bsrgeam_wf_per_row_multipass_2_3_kernelILj256ELj2ELj64EdEEv20rocsparse_direction_iiiNS_24const_host_device_scalarIT2_EEPKiS6_PKS3_S4_S6_S6_S8_S6_PiPS3_21rocsparse_index_base_SB_SB_b.uses_flat_scratch, 0
	.set _ZN9rocsparseL39bsrgeam_wf_per_row_multipass_2_3_kernelILj256ELj2ELj64EdEEv20rocsparse_direction_iiiNS_24const_host_device_scalarIT2_EEPKiS6_PKS3_S4_S6_S6_S8_S6_PiPS3_21rocsparse_index_base_SB_SB_b.has_dyn_sized_stack, 0
	.set _ZN9rocsparseL39bsrgeam_wf_per_row_multipass_2_3_kernelILj256ELj2ELj64EdEEv20rocsparse_direction_iiiNS_24const_host_device_scalarIT2_EEPKiS6_PKS3_S4_S6_S6_S8_S6_PiPS3_21rocsparse_index_base_SB_SB_b.has_recursion, 0
	.set _ZN9rocsparseL39bsrgeam_wf_per_row_multipass_2_3_kernelILj256ELj2ELj64EdEEv20rocsparse_direction_iiiNS_24const_host_device_scalarIT2_EEPKiS6_PKS3_S4_S6_S6_S8_S6_PiPS3_21rocsparse_index_base_SB_SB_b.has_indirect_call, 0
	.section	.AMDGPU.csdata,"",@progbits
; Kernel info:
; codeLenInByte = 1836
; TotalNumSgprs: 34
; NumVgprs: 49
; ScratchSize: 0
; MemoryBound: 0
; FloatMode: 240
; IeeeMode: 1
; LDSByteSize: 8448 bytes/workgroup (compile time only)
; SGPRBlocks: 10
; VGPRBlocks: 12
; NumSGPRsForWavesPerEU: 81
; NumVGPRsForWavesPerEU: 49
; Occupancy: 4
; WaveLimiterHint : 1
; COMPUTE_PGM_RSRC2:SCRATCH_EN: 0
; COMPUTE_PGM_RSRC2:USER_SGPR: 6
; COMPUTE_PGM_RSRC2:TRAP_HANDLER: 0
; COMPUTE_PGM_RSRC2:TGID_X_EN: 1
; COMPUTE_PGM_RSRC2:TGID_Y_EN: 0
; COMPUTE_PGM_RSRC2:TGID_Z_EN: 0
; COMPUTE_PGM_RSRC2:TIDIG_COMP_CNT: 0
	.section	.text._ZN9rocsparseL39bsrgeam_wf_per_row_multipass_2_3_kernelILj256ELj3ELj32EdEEv20rocsparse_direction_iiiNS_24const_host_device_scalarIT2_EEPKiS6_PKS3_S4_S6_S6_S8_S6_PiPS3_21rocsparse_index_base_SB_SB_b,"axG",@progbits,_ZN9rocsparseL39bsrgeam_wf_per_row_multipass_2_3_kernelILj256ELj3ELj32EdEEv20rocsparse_direction_iiiNS_24const_host_device_scalarIT2_EEPKiS6_PKS3_S4_S6_S6_S8_S6_PiPS3_21rocsparse_index_base_SB_SB_b,comdat
	.globl	_ZN9rocsparseL39bsrgeam_wf_per_row_multipass_2_3_kernelILj256ELj3ELj32EdEEv20rocsparse_direction_iiiNS_24const_host_device_scalarIT2_EEPKiS6_PKS3_S4_S6_S6_S8_S6_PiPS3_21rocsparse_index_base_SB_SB_b ; -- Begin function _ZN9rocsparseL39bsrgeam_wf_per_row_multipass_2_3_kernelILj256ELj3ELj32EdEEv20rocsparse_direction_iiiNS_24const_host_device_scalarIT2_EEPKiS6_PKS3_S4_S6_S6_S8_S6_PiPS3_21rocsparse_index_base_SB_SB_b
	.p2align	8
	.type	_ZN9rocsparseL39bsrgeam_wf_per_row_multipass_2_3_kernelILj256ELj3ELj32EdEEv20rocsparse_direction_iiiNS_24const_host_device_scalarIT2_EEPKiS6_PKS3_S4_S6_S6_S8_S6_PiPS3_21rocsparse_index_base_SB_SB_b,@function
_ZN9rocsparseL39bsrgeam_wf_per_row_multipass_2_3_kernelILj256ELj3ELj32EdEEv20rocsparse_direction_iiiNS_24const_host_device_scalarIT2_EEPKiS6_PKS3_S4_S6_S6_S8_S6_PiPS3_21rocsparse_index_base_SB_SB_b: ; @_ZN9rocsparseL39bsrgeam_wf_per_row_multipass_2_3_kernelILj256ELj3ELj32EdEEv20rocsparse_direction_iiiNS_24const_host_device_scalarIT2_EEPKiS6_PKS3_S4_S6_S6_S8_S6_PiPS3_21rocsparse_index_base_SB_SB_b
; %bb.0:
	s_load_dwordx4 s[8:11], s[4:5], 0x68
	s_load_dwordx2 s[12:13], s[4:5], 0x10
	s_load_dwordx2 s[0:1], s[4:5], 0x30
	s_waitcnt lgkmcnt(0)
	s_bitcmp1_b32 s11, 0
	s_cselect_b64 s[14:15], -1, 0
	v_mov_b32_e32 v4, s12
	s_xor_b64 s[2:3], s[14:15], -1
	s_and_b64 vcc, exec, s[14:15]
	v_mov_b32_e32 v5, s13
	s_cbranch_vccnz .LBB10_2
; %bb.1:
	v_mov_b32_e32 v1, s12
	v_mov_b32_e32 v2, s13
	flat_load_dwordx2 v[4:5], v[1:2]
.LBB10_2:
	v_mov_b32_e32 v7, s1
	s_andn2_b64 vcc, exec, s[2:3]
	v_mov_b32_e32 v6, s0
	s_cbranch_vccnz .LBB10_4
; %bb.3:
	v_mov_b32_e32 v2, s1
	v_mov_b32_e32 v1, s0
	flat_load_dwordx2 v[6:7], v[1:2]
.LBB10_4:
	s_load_dwordx4 s[12:15], s[4:5], 0x0
	s_lshl_b32 s0, s6, 3
	v_lshrrev_b32_e32 v3, 5, v0
	s_and_b32 s0, s0, 0x7fffff8
	v_or_b32_e32 v1, s0, v3
	s_waitcnt lgkmcnt(0)
	v_cmp_gt_i32_e32 vcc, s13, v1
	s_and_saveexec_b64 s[0:1], vcc
	s_cbranch_execz .LBB10_39
; %bb.5:
	s_load_dwordx4 s[16:19], s[4:5], 0x18
	s_load_dwordx4 s[20:23], s[4:5], 0x38
	s_load_dwordx2 s[0:1], s[4:5], 0x50
	v_lshlrev_b32_e32 v10, 2, v1
	s_waitcnt lgkmcnt(0)
	global_load_dwordx2 v[1:2], v10, s[16:17]
	global_load_dwordx2 v[8:9], v10, s[20:21]
	global_load_dword v13, v10, s[0:1]
	s_waitcnt vmcnt(0)
	v_subrev_u32_e32 v10, s8, v1
	v_cmp_lt_i32_e32 vcc, v1, v2
	v_mov_b32_e32 v1, s14
	s_and_saveexec_b64 s[0:1], vcc
	s_cbranch_execz .LBB10_7
; %bb.6:
	v_ashrrev_i32_e32 v11, 31, v10
	v_lshlrev_b64 v[11:12], 2, v[10:11]
	v_mov_b32_e32 v1, s19
	v_add_co_u32_e32 v11, vcc, s18, v11
	v_addc_co_u32_e32 v12, vcc, v1, v12, vcc
	global_load_dword v1, v[11:12], off
	s_waitcnt vmcnt(0)
	v_subrev_u32_e32 v1, s8, v1
.LBB10_7:
	s_or_b64 exec, exec, s[0:1]
	s_load_dwordx4 s[24:27], s[4:5], 0x58
	s_load_dwordx2 s[6:7], s[4:5], 0x28
	s_load_dwordx2 s[16:17], s[4:5], 0x48
	v_subrev_u32_e32 v11, s9, v8
	v_cmp_lt_i32_e32 vcc, v8, v9
	v_mov_b32_e32 v8, s14
	s_and_saveexec_b64 s[0:1], vcc
	s_cbranch_execz .LBB10_9
; %bb.8:
	v_ashrrev_i32_e32 v12, 31, v11
	v_lshlrev_b64 v[14:15], 2, v[11:12]
	v_mov_b32_e32 v8, s23
	v_add_co_u32_e32 v14, vcc, s22, v14
	v_addc_co_u32_e32 v15, vcc, v8, v15, vcc
	global_load_dword v8, v[14:15], off
	s_waitcnt vmcnt(0)
	v_subrev_u32_e32 v8, s9, v8
.LBB10_9:
	s_or_b64 exec, exec, s[0:1]
	v_and_b32_e32 v12, 0xe0, v0
	v_and_b32_e32 v0, 31, v0
	s_movk_i32 s0, 0x900
	v_min_i32_e32 v47, v8, v1
	v_mul_u32_u24_e32 v1, 0x48, v0
	v_mad_u32_u24 v36, v3, s0, v1
	v_mbcnt_lo_u32_b32 v1, -1, 0
	v_mbcnt_hi_u32_b32 v1, -1, v1
	v_mul_u32_u24_e32 v32, 0x900, v3
	v_subrev_u32_e32 v33, s8, v2
	v_and_b32_e32 v2, 64, v1
	v_xor_b32_e32 v3, 31, v0
	v_add_u32_e32 v2, 64, v2
	v_lshrrev_b32_e64 v37, v3, -1
	v_xor_b32_e32 v3, 16, v1
	v_cmp_lt_i32_e32 vcc, v3, v2
	v_cndmask_b32_e32 v3, v1, v3, vcc
	v_lshlrev_b32_e32 v39, 2, v3
	v_xor_b32_e32 v3, 8, v1
	v_cmp_lt_i32_e32 vcc, v3, v2
	v_cndmask_b32_e32 v3, v1, v3, vcc
	v_lshlrev_b32_e32 v40, 2, v3
	v_xor_b32_e32 v3, 4, v1
	v_cmp_lt_i32_e32 vcc, v3, v2
	v_cndmask_b32_e32 v3, v1, v3, vcc
	v_lshlrev_b32_e32 v41, 2, v3
	v_xor_b32_e32 v3, 2, v1
	v_cmp_lt_i32_e32 vcc, v3, v2
	v_cndmask_b32_e32 v3, v1, v3, vcc
	s_mov_b32 s0, 0
	s_cmp_lg_u32 s12, 0
	v_lshlrev_b32_e32 v42, 2, v3
	v_xor_b32_e32 v3, 1, v1
	v_or_b32_e32 v31, 0x4800, v12
	s_cselect_b64 s[2:3], -1, 0
	v_cmp_lt_i32_e32 vcc, v3, v2
	s_mov_b32 s1, s0
	s_mov_b32 s5, s0
	v_subrev_u32_e32 v35, s10, v13
	v_add_u32_e32 v8, v10, v0
	v_add_u32_e32 v10, v11, v0
	v_mov_b32_e32 v12, 0
	s_cmp_eq_u32 s12, 0
	v_add_u32_e32 v38, s10, v0
	v_cndmask_b32_e32 v1, v1, v3, vcc
	v_add_u32_e32 v44, v31, v0
	s_mov_b32 s4, s0
	v_mov_b32_e32 v14, s1
	v_mov_b32_e32 v16, s5
	v_cndmask_b32_e64 v0, 0, 1, s[2:3]
	v_subrev_u32_e32 v34, s9, v9
	s_movk_i32 s15, 0x48
	v_lshlrev_b32_e32 v43, 2, v1
	s_cselect_b32 s33, 8, 24
	s_cselect_b32 s34, 16, 48
	;; [unrolled: 1-line block ×6, first 2 shown]
	s_mov_b64 s[10:11], 0
	v_mov_b32_e32 v13, s0
	v_mov_b32_e32 v15, s4
	;; [unrolled: 1-line block ×5, first 2 shown]
	v_cmp_ne_u32_e64 s[0:1], 1, v0
	s_branch .LBB10_11
.LBB10_10:                              ;   in Loop: Header=BB10_11 Depth=1
	s_or_b64 exec, exec, s[4:5]
	ds_bpermute_b32 v0, v39, v46
	s_bcnt1_i32_b64 s2, vcc
	v_add_u32_e32 v35, s2, v35
	s_waitcnt lgkmcnt(0)
	v_min_i32_e32 v0, v0, v46
	ds_bpermute_b32 v1, v40, v0
	s_waitcnt lgkmcnt(0)
	v_min_i32_e32 v0, v1, v0
	ds_bpermute_b32 v1, v41, v0
	;; [unrolled: 3-line block ×4, first 2 shown]
	s_waitcnt lgkmcnt(0)
	v_min_i32_e32 v47, v1, v0
	v_cmp_le_i32_e32 vcc, s14, v47
	s_or_b64 s[10:11], vcc, s[10:11]
	s_andn2_b64 exec, exec, s[10:11]
	s_cbranch_execz .LBB10_39
.LBB10_11:                              ; =>This Loop Header: Depth=1
                                        ;     Child Loop BB10_14 Depth 2
                                        ;     Child Loop BB10_27 Depth 2
	v_cmp_lt_i32_e32 vcc, v8, v33
	v_mov_b32_e32 v46, s14
	ds_write_b8 v44, v12
	ds_write2_b64 v36, v[13:14], v[15:16] offset1:1
	ds_write2_b64 v36, v[13:14], v[15:16] offset0:2 offset1:3
	ds_write2_b64 v36, v[13:14], v[15:16] offset0:4 offset1:5
	;; [unrolled: 1-line block ×3, first 2 shown]
	ds_write_b64 v36, v[17:18] offset:64
	s_waitcnt lgkmcnt(0)
	s_and_saveexec_b64 s[12:13], vcc
	s_cbranch_execz .LBB10_24
; %bb.12:                               ;   in Loop: Header=BB10_11 Depth=1
	v_mad_u64_u32 v[0:1], s[2:3], v8, 9, 8
	s_mov_b64 s[20:21], 0
	v_mov_b32_e32 v46, s14
	s_branch .LBB10_14
.LBB10_13:                              ;   in Loop: Header=BB10_14 Depth=2
	s_or_b64 exec, exec, s[28:29]
	s_and_b64 s[2:3], exec, s[4:5]
	s_or_b64 s[20:21], s[2:3], s[20:21]
	s_andn2_b64 exec, exec, s[20:21]
	s_cbranch_execz .LBB10_23
.LBB10_14:                              ;   Parent Loop BB10_11 Depth=1
                                        ; =>  This Inner Loop Header: Depth=2
	v_ashrrev_i32_e32 v9, 31, v8
	v_lshlrev_b64 v[1:2], 2, v[8:9]
	v_mov_b32_e32 v3, s19
	v_add_co_u32_e32 v1, vcc, s18, v1
	v_addc_co_u32_e32 v2, vcc, v3, v2, vcc
	global_load_dword v1, v[1:2], off
	s_waitcnt vmcnt(0)
	v_subrev_u32_e32 v2, s8, v1
	v_sub_u32_e32 v1, v2, v47
	v_cmp_gt_u32_e64 s[2:3], 32, v1
	v_cmp_lt_u32_e32 vcc, 31, v1
	s_and_saveexec_b64 s[4:5], vcc
	s_xor_b64 s[4:5], exec, s[4:5]
; %bb.15:                               ;   in Loop: Header=BB10_14 Depth=2
	v_min_i32_e32 v46, v2, v46
                                        ; implicit-def: $vgpr1
; %bb.16:                               ;   in Loop: Header=BB10_14 Depth=2
	s_andn2_saveexec_b64 s[28:29], s[4:5]
	s_cbranch_execz .LBB10_21
; %bb.17:                               ;   in Loop: Header=BB10_14 Depth=2
	v_add_u32_e32 v11, -8, v0
	v_lshlrev_b64 v[2:3], 3, v[11:12]
	v_mov_b32_e32 v9, s7
	v_add_co_u32_e32 v2, vcc, s6, v2
	v_addc_co_u32_e32 v3, vcc, v9, v3, vcc
	global_load_dwordx2 v[20:21], v[2:3], off
	v_add_u32_e32 v3, v31, v1
	v_mul_lo_u32 v1, v1, s15
	v_add_u32_e32 v11, -4, v0
	v_lshlrev_b64 v[23:24], 3, v[11:12]
	v_mov_b32_e32 v22, s7
	v_add_u32_e32 v9, v32, v1
	v_add_co_u32_e64 v23, s[4:5], s6, v23
	s_mov_b64 s[30:31], -1
	s_and_b64 vcc, exec, s[0:1]
	v_add_u32_e32 v19, -2, v0
	v_add_u32_e32 v27, -7, v0
	;; [unrolled: 1-line block ×5, first 2 shown]
	v_addc_co_u32_e64 v24, s[4:5], v22, v24, s[4:5]
	ds_write_b8 v3, v45
	s_waitcnt vmcnt(0)
	v_mul_f64 v[20:21], v[4:5], v[20:21]
	ds_write_b64 v9, v[20:21]
	v_add_u32_e32 v21, -3, v0
	s_cbranch_vccnz .LBB10_19
; %bb.18:                               ;   in Loop: Header=BB10_14 Depth=2
	v_lshlrev_b64 v[28:29], 3, v[11:12]
	v_mov_b32_e32 v1, s7
	v_add_co_u32_e32 v48, vcc, s6, v28
	v_mov_b32_e32 v20, v12
	v_addc_co_u32_e32 v49, vcc, v1, v29, vcc
	v_lshlrev_b64 v[28:29], 3, v[19:20]
	v_mov_b32_e32 v3, v12
	v_add_co_u32_e32 v50, vcc, s6, v28
	v_mov_b32_e32 v28, v12
	v_addc_co_u32_e32 v51, vcc, v1, v29, vcc
	v_lshlrev_b64 v[28:29], 3, v[27:28]
	v_mov_b32_e32 v26, v12
	v_add_co_u32_e32 v28, vcc, s6, v28
	v_addc_co_u32_e32 v29, vcc, v1, v29, vcc
	global_load_dwordx2 v[52:53], v[48:49], off
	global_load_dwordx2 v[54:55], v[50:51], off
	;; [unrolled: 1-line block ×4, first 2 shown]
	v_lshlrev_b64 v[28:29], 3, v[2:3]
	v_lshlrev_b64 v[48:49], 3, v[25:26]
	v_add_co_u32_e32 v28, vcc, s6, v28
	v_addc_co_u32_e32 v29, vcc, v1, v29, vcc
	v_mov_b32_e32 v22, v12
	v_add_co_u32_e32 v48, vcc, s6, v48
	v_lshlrev_b64 v[50:51], 3, v[21:22]
	v_addc_co_u32_e32 v49, vcc, v1, v49, vcc
	v_add_co_u32_e32 v50, vcc, s6, v50
	v_addc_co_u32_e32 v51, vcc, v1, v51, vcc
	v_mov_b32_e32 v1, v12
	v_lshlrev_b64 v[60:61], 3, v[0:1]
	v_mov_b32_e32 v1, s7
	v_add_co_u32_e32 v60, vcc, s6, v60
	v_addc_co_u32_e32 v61, vcc, v1, v61, vcc
	global_load_dwordx2 v[62:63], v[28:29], off
	global_load_dwordx2 v[64:65], v[48:49], off
	global_load_dwordx2 v[66:67], v[50:51], off
	global_load_dwordx2 v[68:69], v[60:61], off
	s_mov_b64 s[30:31], 0
	s_waitcnt vmcnt(7)
	v_mul_f64 v[28:29], v[4:5], v[52:53]
	s_waitcnt vmcnt(6)
	v_mul_f64 v[48:49], v[4:5], v[54:55]
	;; [unrolled: 2-line block ×8, first 2 shown]
	ds_write2_b64 v9, v[28:29], v[48:49] offset0:1 offset1:2
	ds_write2_b64 v9, v[50:51], v[52:53] offset0:3 offset1:4
	;; [unrolled: 1-line block ×4, first 2 shown]
.LBB10_19:                              ;   in Loop: Header=BB10_14 Depth=2
	s_andn2_b64 vcc, exec, s[30:31]
	s_cbranch_vccnz .LBB10_21
; %bb.20:                               ;   in Loop: Header=BB10_14 Depth=2
	v_mov_b32_e32 v28, v12
	v_lshlrev_b64 v[26:27], 3, v[27:28]
	v_mov_b32_e32 v1, s7
	v_add_co_u32_e32 v28, vcc, s6, v26
	v_mov_b32_e32 v26, v12
	v_lshlrev_b64 v[25:26], 3, v[25:26]
	v_addc_co_u32_e32 v29, vcc, v1, v27, vcc
	v_add_co_u32_e32 v25, vcc, s6, v25
	v_lshlrev_b64 v[48:49], 3, v[11:12]
	v_addc_co_u32_e32 v26, vcc, v1, v26, vcc
	v_mov_b32_e32 v22, v12
	v_add_co_u32_e32 v48, vcc, s6, v48
	v_lshlrev_b64 v[20:21], 3, v[21:22]
	v_addc_co_u32_e32 v49, vcc, v1, v49, vcc
	v_add_co_u32_e32 v22, vcc, s6, v20
	v_mov_b32_e32 v20, v12
	v_lshlrev_b64 v[19:20], 3, v[19:20]
	global_load_dwordx2 v[50:51], v[28:29], off
	global_load_dwordx2 v[52:53], v[25:26], off
	;; [unrolled: 1-line block ×4, first 2 shown]
	v_addc_co_u32_e32 v23, vcc, v1, v21, vcc
	v_add_co_u32_e32 v19, vcc, s6, v19
	v_mov_b32_e32 v3, v12
	v_addc_co_u32_e32 v20, vcc, v1, v20, vcc
	v_lshlrev_b64 v[1:2], 3, v[2:3]
	v_mov_b32_e32 v3, s7
	v_add_co_u32_e32 v24, vcc, s6, v1
	v_mov_b32_e32 v1, v12
	v_addc_co_u32_e32 v25, vcc, v3, v2, vcc
	v_lshlrev_b64 v[1:2], 3, v[0:1]
	v_add_co_u32_e32 v1, vcc, s6, v1
	v_addc_co_u32_e32 v2, vcc, v3, v2, vcc
	global_load_dwordx2 v[26:27], v[22:23], off
	global_load_dwordx2 v[28:29], v[19:20], off
	;; [unrolled: 1-line block ×4, first 2 shown]
	s_waitcnt vmcnt(7)
	v_mul_f64 v[1:2], v[4:5], v[50:51]
	s_waitcnt vmcnt(6)
	v_mul_f64 v[19:20], v[4:5], v[52:53]
	;; [unrolled: 2-line block ×8, first 2 shown]
	ds_write2_b64 v9, v[1:2], v[19:20] offset0:1 offset1:2
	ds_write2_b64 v9, v[21:22], v[23:24] offset0:3 offset1:4
	;; [unrolled: 1-line block ×4, first 2 shown]
.LBB10_21:                              ;   in Loop: Header=BB10_14 Depth=2
	s_or_b64 exec, exec, s[28:29]
	s_mov_b64 s[4:5], -1
	s_and_saveexec_b64 s[28:29], s[2:3]
	s_cbranch_execz .LBB10_13
; %bb.22:                               ;   in Loop: Header=BB10_14 Depth=2
	v_add_u32_e32 v8, 32, v8
	v_cmp_ge_i32_e32 vcc, v8, v33
	v_add_u32_e32 v0, 0x120, v0
	s_orn2_b64 s[4:5], vcc, exec
	s_branch .LBB10_13
.LBB10_23:                              ;   in Loop: Header=BB10_11 Depth=1
	s_or_b64 exec, exec, s[20:21]
.LBB10_24:                              ;   in Loop: Header=BB10_11 Depth=1
	s_or_b64 exec, exec, s[12:13]
	v_cmp_lt_i32_e32 vcc, v10, v34
	s_waitcnt lgkmcnt(0)
	s_and_saveexec_b64 s[12:13], vcc
	s_cbranch_execz .LBB10_37
; %bb.25:                               ;   in Loop: Header=BB10_11 Depth=1
	v_mad_u64_u32 v[19:20], s[2:3], v10, 9, 8
	s_mov_b64 s[20:21], 0
	s_branch .LBB10_27
.LBB10_26:                              ;   in Loop: Header=BB10_27 Depth=2
	s_or_b64 exec, exec, s[28:29]
	s_and_b64 s[2:3], exec, s[4:5]
	s_or_b64 s[20:21], s[2:3], s[20:21]
	s_andn2_b64 exec, exec, s[20:21]
	s_cbranch_execz .LBB10_36
.LBB10_27:                              ;   Parent Loop BB10_11 Depth=1
                                        ; =>  This Inner Loop Header: Depth=2
	v_ashrrev_i32_e32 v11, 31, v10
	v_lshlrev_b64 v[0:1], 2, v[10:11]
	v_mov_b32_e32 v2, s23
	v_add_co_u32_e32 v0, vcc, s22, v0
	v_addc_co_u32_e32 v1, vcc, v2, v1, vcc
	global_load_dword v0, v[0:1], off
	s_waitcnt vmcnt(0)
	v_subrev_u32_e32 v1, s9, v0
	v_sub_u32_e32 v0, v1, v47
	v_cmp_gt_u32_e64 s[2:3], 32, v0
	v_cmp_lt_u32_e32 vcc, 31, v0
	s_and_saveexec_b64 s[4:5], vcc
	s_xor_b64 s[4:5], exec, s[4:5]
; %bb.28:                               ;   in Loop: Header=BB10_27 Depth=2
	v_min_i32_e32 v46, v1, v46
                                        ; implicit-def: $vgpr0
; %bb.29:                               ;   in Loop: Header=BB10_27 Depth=2
	s_andn2_saveexec_b64 s[28:29], s[4:5]
	s_cbranch_execz .LBB10_34
; %bb.30:                               ;   in Loop: Header=BB10_27 Depth=2
	v_add_u32_e32 v11, -8, v19
	v_lshlrev_b64 v[1:2], 3, v[11:12]
	v_mov_b32_e32 v3, s17
	v_add_co_u32_e32 v1, vcc, s16, v1
	v_addc_co_u32_e32 v2, vcc, v3, v2, vcc
	global_load_dwordx2 v[24:25], v[1:2], off
	v_add_u32_e32 v11, v31, v0
	v_mul_lo_u32 v0, v0, s15
	ds_write_b8 v11, v45
	v_add_u32_e32 v11, -4, v19
	v_mov_b32_e32 v20, s17
	v_add_u32_e32 v9, v32, v0
	ds_read2_b64 v[0:3], v9 offset1:1
	s_mov_b64 s[30:31], -1
	s_and_b64 vcc, exec, s[0:1]
	v_add_u32_e32 v23, -2, v19
	v_add_u32_e32 v29, -7, v19
	;; [unrolled: 1-line block ×4, first 2 shown]
	s_waitcnt vmcnt(0) lgkmcnt(0)
	v_fma_f64 v[0:1], v[6:7], v[24:25], v[0:1]
	v_lshlrev_b64 v[25:26], 3, v[11:12]
	v_add_u32_e32 v11, -5, v19
	v_add_co_u32_e64 v25, s[4:5], s16, v25
	v_addc_co_u32_e64 v26, s[4:5], v20, v26, s[4:5]
	ds_write_b64 v9, v[0:1]
	v_add_u32_e32 v0, -3, v19
	s_cbranch_vccnz .LBB10_32
; %bb.31:                               ;   in Loop: Header=BB10_27 Depth=2
	v_lshlrev_b64 v[48:49], 3, v[11:12]
	v_mov_b32_e32 v24, v12
	v_mov_b32_e32 v1, s17
	v_add_co_u32_e32 v48, vcc, s16, v48
	v_lshlrev_b64 v[50:51], 3, v[23:24]
	v_addc_co_u32_e32 v49, vcc, v1, v49, vcc
	v_mov_b32_e32 v30, v12
	v_add_co_u32_e32 v50, vcc, s16, v50
	v_lshlrev_b64 v[52:53], 3, v[29:30]
	v_addc_co_u32_e32 v51, vcc, v1, v51, vcc
	;; [unrolled: 4-line block ×3, first 2 shown]
	v_add_co_u32_e32 v54, vcc, s16, v54
	v_mov_b32_e32 v28, v12
	global_load_dwordx2 v[60:61], v[25:26], off
	v_addc_co_u32_e32 v55, vcc, v1, v55, vcc
	global_load_dwordx2 v[62:63], v[48:49], off
	global_load_dwordx2 v[64:65], v[50:51], off
	;; [unrolled: 1-line block ×4, first 2 shown]
	v_lshlrev_b64 v[48:49], 3, v[27:28]
	v_mov_b32_e32 v20, v12
	v_add_co_u32_e32 v48, vcc, s16, v48
	v_addc_co_u32_e32 v49, vcc, v1, v49, vcc
	v_mov_b32_e32 v1, v12
	v_lshlrev_b64 v[50:51], 3, v[0:1]
	v_mov_b32_e32 v1, s17
	v_add_co_u32_e32 v50, vcc, s16, v50
	v_lshlrev_b64 v[52:53], 3, v[19:20]
	v_addc_co_u32_e32 v51, vcc, v1, v51, vcc
	v_add_co_u32_e32 v52, vcc, s16, v52
	v_addc_co_u32_e32 v53, vcc, v1, v53, vcc
	global_load_dwordx2 v[70:71], v[48:49], off
	global_load_dwordx2 v[72:73], v[50:51], off
	;; [unrolled: 1-line block ×3, first 2 shown]
	ds_read2_b64 v[48:51], v9 offset0:4 offset1:5
	ds_read2_b64 v[52:55], v9 offset0:2 offset1:3
	ds_read2_b64 v[56:59], v9 offset0:6 offset1:7
	ds_read_b64 v[76:77], v9 offset:64
	s_mov_b64 s[30:31], 0
	s_waitcnt vmcnt(7) lgkmcnt(3)
	v_fma_f64 v[48:49], v[6:7], v[60:61], v[48:49]
	s_waitcnt vmcnt(6)
	v_fma_f64 v[60:61], v[6:7], v[62:63], v[2:3]
	s_waitcnt vmcnt(5) lgkmcnt(2)
	v_fma_f64 v[52:53], v[6:7], v[64:65], v[52:53]
	s_waitcnt vmcnt(4)
	v_fma_f64 v[54:55], v[6:7], v[66:67], v[54:55]
	s_waitcnt vmcnt(3)
	v_fma_f64 v[50:51], v[6:7], v[68:69], v[50:51]
	s_waitcnt vmcnt(2) lgkmcnt(1)
	v_fma_f64 v[56:57], v[6:7], v[70:71], v[56:57]
	s_waitcnt vmcnt(1)
	v_fma_f64 v[58:59], v[6:7], v[72:73], v[58:59]
	s_waitcnt vmcnt(0) lgkmcnt(0)
	v_fma_f64 v[62:63], v[6:7], v[74:75], v[76:77]
	ds_write2_b64 v9, v[60:61], v[52:53] offset0:1 offset1:2
	ds_write2_b64 v9, v[54:55], v[48:49] offset0:3 offset1:4
	;; [unrolled: 1-line block ×4, first 2 shown]
.LBB10_32:                              ;   in Loop: Header=BB10_27 Depth=2
	s_andn2_b64 vcc, exec, s[30:31]
	s_cbranch_vccnz .LBB10_34
; %bb.33:                               ;   in Loop: Header=BB10_27 Depth=2
	v_mov_b32_e32 v30, v12
	v_lshlrev_b64 v[28:29], 3, v[29:30]
	v_mov_b32_e32 v1, s17
	v_add_co_u32_e32 v48, vcc, s16, v28
	v_mov_b32_e32 v28, v12
	v_lshlrev_b64 v[27:28], 3, v[27:28]
	v_addc_co_u32_e32 v49, vcc, v1, v29, vcc
	v_add_co_u32_e32 v27, vcc, s16, v27
	v_lshlrev_b64 v[29:30], 3, v[11:12]
	v_addc_co_u32_e32 v28, vcc, v1, v28, vcc
	v_add_co_u32_e32 v29, vcc, s16, v29
	v_addc_co_u32_e32 v30, vcc, v1, v30, vcc
	v_mov_b32_e32 v1, v12
	v_lshlrev_b64 v[0:1], 3, v[0:1]
	v_mov_b32_e32 v11, s17
	v_add_co_u32_e32 v0, vcc, s16, v0
	v_addc_co_u32_e32 v1, vcc, v11, v1, vcc
	v_mov_b32_e32 v24, v12
	global_load_dwordx2 v[52:53], v[25:26], off
	global_load_dwordx2 v[54:55], v[48:49], off
	;; [unrolled: 1-line block ×5, first 2 shown]
	v_lshlrev_b64 v[0:1], 3, v[23:24]
	v_mov_b32_e32 v22, v12
	v_add_co_u32_e32 v0, vcc, s16, v0
	v_lshlrev_b64 v[20:21], 3, v[21:22]
	v_addc_co_u32_e32 v1, vcc, v11, v1, vcc
	v_add_co_u32_e32 v22, vcc, s16, v20
	v_mov_b32_e32 v20, v12
	v_addc_co_u32_e32 v23, vcc, v11, v21, vcc
	v_lshlrev_b64 v[20:21], 3, v[19:20]
	v_add_co_u32_e32 v20, vcc, s16, v20
	v_addc_co_u32_e32 v21, vcc, v11, v21, vcc
	global_load_dwordx2 v[28:29], v[0:1], off
	global_load_dwordx2 v[62:63], v[22:23], off
	;; [unrolled: 1-line block ×3, first 2 shown]
	ds_read2_b64 v[20:23], v9 offset0:4 offset1:5
	ds_read2_b64 v[24:27], v9 offset0:2 offset1:3
	;; [unrolled: 1-line block ×3, first 2 shown]
	ds_read_b64 v[0:1], v9 offset:64
	s_waitcnt vmcnt(6)
	v_fma_f64 v[2:3], v[6:7], v[54:55], v[2:3]
	s_waitcnt vmcnt(5) lgkmcnt(2)
	v_fma_f64 v[24:25], v[6:7], v[56:57], v[24:25]
	v_fma_f64 v[20:21], v[6:7], v[52:53], v[20:21]
	s_waitcnt vmcnt(4)
	v_fma_f64 v[26:27], v[6:7], v[58:59], v[26:27]
	s_waitcnt vmcnt(3)
	v_fma_f64 v[22:23], v[6:7], v[60:61], v[22:23]
	s_waitcnt vmcnt(2) lgkmcnt(1)
	v_fma_f64 v[28:29], v[6:7], v[28:29], v[48:49]
	s_waitcnt vmcnt(1)
	v_fma_f64 v[48:49], v[6:7], v[62:63], v[50:51]
	s_waitcnt vmcnt(0) lgkmcnt(0)
	v_fma_f64 v[0:1], v[6:7], v[64:65], v[0:1]
	ds_write2_b64 v9, v[2:3], v[24:25] offset0:1 offset1:2
	ds_write2_b64 v9, v[26:27], v[20:21] offset0:3 offset1:4
	;; [unrolled: 1-line block ×4, first 2 shown]
.LBB10_34:                              ;   in Loop: Header=BB10_27 Depth=2
	s_or_b64 exec, exec, s[28:29]
	s_mov_b64 s[4:5], -1
	s_and_saveexec_b64 s[28:29], s[2:3]
	s_cbranch_execz .LBB10_26
; %bb.35:                               ;   in Loop: Header=BB10_27 Depth=2
	v_add_u32_e32 v10, 32, v10
	v_cmp_ge_i32_e32 vcc, v10, v34
	v_add_u32_e32 v19, 0x120, v19
	s_orn2_b64 s[4:5], vcc, exec
	s_branch .LBB10_26
.LBB10_36:                              ;   in Loop: Header=BB10_11 Depth=1
	s_or_b64 exec, exec, s[20:21]
.LBB10_37:                              ;   in Loop: Header=BB10_11 Depth=1
	s_or_b64 exec, exec, s[12:13]
	s_waitcnt lgkmcnt(0)
	ds_read_u8 v0, v44
	s_waitcnt lgkmcnt(0)
	v_and_b32_e32 v1, 1, v0
	v_cmp_eq_u32_e64 s[2:3], 1, v1
	v_cmp_ne_u16_e32 vcc, 0, v0
	s_and_saveexec_b64 s[4:5], s[2:3]
	s_cbranch_execz .LBB10_10
; %bb.38:                               ;   in Loop: Header=BB10_11 Depth=1
	v_and_b32_e32 v0, vcc_lo, v37
	v_bcnt_u32_b32 v0, v0, 0
	v_add3_u32 v0, v35, v0, -1
	v_ashrrev_i32_e32 v1, 31, v0
	v_lshlrev_b64 v[1:2], 2, v[0:1]
	v_mov_b32_e32 v9, s25
	v_add_co_u32_e64 v1, s[2:3], s24, v1
	v_add_u32_e32 v3, v38, v47
	v_addc_co_u32_e64 v2, s[2:3], v9, v2, s[2:3]
	global_store_dword v[1:2], v3, off
	v_lshl_add_u32 v11, v0, 3, v0
	ds_read2_b64 v[0:3], v36 offset1:4
	v_lshlrev_b64 v[19:20], 3, v[11:12]
	v_mov_b32_e32 v9, s27
	v_add_co_u32_e64 v19, s[2:3], s26, v19
	v_addc_co_u32_e64 v20, s[2:3], v9, v20, s[2:3]
	s_waitcnt lgkmcnt(0)
	global_store_dwordx2 v[19:20], v[0:1], off
	v_add_u32_e32 v0, 1, v11
	v_mov_b32_e32 v1, v12
	v_lshlrev_b64 v[0:1], 3, v[0:1]
	v_add_u32_e32 v19, 2, v11
	v_mov_b32_e32 v20, v12
	v_add_co_u32_e64 v0, s[2:3], s26, v0
	v_lshlrev_b64 v[19:20], 3, v[19:20]
	v_addc_co_u32_e64 v1, s[2:3], v9, v1, s[2:3]
	v_add_u32_e32 v21, 3, v11
	v_mov_b32_e32 v22, v12
	v_add_co_u32_e64 v19, s[2:3], s26, v19
	v_lshlrev_b64 v[21:22], 3, v[21:22]
	v_addc_co_u32_e64 v20, s[2:3], v9, v20, s[2:3]
	;; [unrolled: 5-line block ×6, first 2 shown]
	v_add_u32_e32 v11, 8, v11
	v_add_co_u32_e64 v29, s[2:3], s26, v29
	v_lshlrev_b64 v[47:48], 3, v[11:12]
	v_addc_co_u32_e64 v30, s[2:3], v9, v30, s[2:3]
	v_add_co_u32_e64 v47, s[2:3], s26, v47
	v_addc_co_u32_e64 v48, s[2:3], v9, v48, s[2:3]
	v_add_u32_e32 v9, s33, v36
	v_add_u32_e32 v11, s34, v36
	ds_read_b64 v[49:50], v9
	ds_read_b64 v[51:52], v11
	v_add_u32_e32 v9, s35, v36
	ds_read_b64 v[53:54], v9
	ds_read_b64 v[55:56], v36 offset:64
	s_waitcnt lgkmcnt(3)
	global_store_dwordx2 v[0:1], v[49:50], off
	s_waitcnt lgkmcnt(2)
	global_store_dwordx2 v[19:20], v[51:52], off
	v_add_u32_e32 v0, s36, v36
	v_add_u32_e32 v9, s37, v36
	;; [unrolled: 1-line block ×3, first 2 shown]
	ds_read_b64 v[0:1], v0
	ds_read_b64 v[19:20], v9
	;; [unrolled: 1-line block ×3, first 2 shown]
	s_waitcnt lgkmcnt(4)
	global_store_dwordx2 v[21:22], v[53:54], off
	global_store_dwordx2 v[23:24], v[2:3], off
	s_waitcnt lgkmcnt(2)
	global_store_dwordx2 v[25:26], v[0:1], off
	s_waitcnt lgkmcnt(1)
	;; [unrolled: 2-line block ×3, first 2 shown]
	global_store_dwordx2 v[29:30], v[49:50], off
	global_store_dwordx2 v[47:48], v[55:56], off
	s_branch .LBB10_10
.LBB10_39:
	s_endpgm
	.section	.rodata,"a",@progbits
	.p2align	6, 0x0
	.amdhsa_kernel _ZN9rocsparseL39bsrgeam_wf_per_row_multipass_2_3_kernelILj256ELj3ELj32EdEEv20rocsparse_direction_iiiNS_24const_host_device_scalarIT2_EEPKiS6_PKS3_S4_S6_S6_S8_S6_PiPS3_21rocsparse_index_base_SB_SB_b
		.amdhsa_group_segment_fixed_size 18688
		.amdhsa_private_segment_fixed_size 0
		.amdhsa_kernarg_size 120
		.amdhsa_user_sgpr_count 6
		.amdhsa_user_sgpr_private_segment_buffer 1
		.amdhsa_user_sgpr_dispatch_ptr 0
		.amdhsa_user_sgpr_queue_ptr 0
		.amdhsa_user_sgpr_kernarg_segment_ptr 1
		.amdhsa_user_sgpr_dispatch_id 0
		.amdhsa_user_sgpr_flat_scratch_init 0
		.amdhsa_user_sgpr_private_segment_size 0
		.amdhsa_uses_dynamic_stack 0
		.amdhsa_system_sgpr_private_segment_wavefront_offset 0
		.amdhsa_system_sgpr_workgroup_id_x 1
		.amdhsa_system_sgpr_workgroup_id_y 0
		.amdhsa_system_sgpr_workgroup_id_z 0
		.amdhsa_system_sgpr_workgroup_info 0
		.amdhsa_system_vgpr_workitem_id 0
		.amdhsa_next_free_vgpr 78
		.amdhsa_next_free_sgpr 98
		.amdhsa_reserve_vcc 1
		.amdhsa_reserve_flat_scratch 0
		.amdhsa_float_round_mode_32 0
		.amdhsa_float_round_mode_16_64 0
		.amdhsa_float_denorm_mode_32 3
		.amdhsa_float_denorm_mode_16_64 3
		.amdhsa_dx10_clamp 1
		.amdhsa_ieee_mode 1
		.amdhsa_fp16_overflow 0
		.amdhsa_exception_fp_ieee_invalid_op 0
		.amdhsa_exception_fp_denorm_src 0
		.amdhsa_exception_fp_ieee_div_zero 0
		.amdhsa_exception_fp_ieee_overflow 0
		.amdhsa_exception_fp_ieee_underflow 0
		.amdhsa_exception_fp_ieee_inexact 0
		.amdhsa_exception_int_div_zero 0
	.end_amdhsa_kernel
	.section	.text._ZN9rocsparseL39bsrgeam_wf_per_row_multipass_2_3_kernelILj256ELj3ELj32EdEEv20rocsparse_direction_iiiNS_24const_host_device_scalarIT2_EEPKiS6_PKS3_S4_S6_S6_S8_S6_PiPS3_21rocsparse_index_base_SB_SB_b,"axG",@progbits,_ZN9rocsparseL39bsrgeam_wf_per_row_multipass_2_3_kernelILj256ELj3ELj32EdEEv20rocsparse_direction_iiiNS_24const_host_device_scalarIT2_EEPKiS6_PKS3_S4_S6_S6_S8_S6_PiPS3_21rocsparse_index_base_SB_SB_b,comdat
.Lfunc_end10:
	.size	_ZN9rocsparseL39bsrgeam_wf_per_row_multipass_2_3_kernelILj256ELj3ELj32EdEEv20rocsparse_direction_iiiNS_24const_host_device_scalarIT2_EEPKiS6_PKS3_S4_S6_S6_S8_S6_PiPS3_21rocsparse_index_base_SB_SB_b, .Lfunc_end10-_ZN9rocsparseL39bsrgeam_wf_per_row_multipass_2_3_kernelILj256ELj3ELj32EdEEv20rocsparse_direction_iiiNS_24const_host_device_scalarIT2_EEPKiS6_PKS3_S4_S6_S6_S8_S6_PiPS3_21rocsparse_index_base_SB_SB_b
                                        ; -- End function
	.set _ZN9rocsparseL39bsrgeam_wf_per_row_multipass_2_3_kernelILj256ELj3ELj32EdEEv20rocsparse_direction_iiiNS_24const_host_device_scalarIT2_EEPKiS6_PKS3_S4_S6_S6_S8_S6_PiPS3_21rocsparse_index_base_SB_SB_b.num_vgpr, 78
	.set _ZN9rocsparseL39bsrgeam_wf_per_row_multipass_2_3_kernelILj256ELj3ELj32EdEEv20rocsparse_direction_iiiNS_24const_host_device_scalarIT2_EEPKiS6_PKS3_S4_S6_S6_S8_S6_PiPS3_21rocsparse_index_base_SB_SB_b.num_agpr, 0
	.set _ZN9rocsparseL39bsrgeam_wf_per_row_multipass_2_3_kernelILj256ELj3ELj32EdEEv20rocsparse_direction_iiiNS_24const_host_device_scalarIT2_EEPKiS6_PKS3_S4_S6_S6_S8_S6_PiPS3_21rocsparse_index_base_SB_SB_b.numbered_sgpr, 39
	.set _ZN9rocsparseL39bsrgeam_wf_per_row_multipass_2_3_kernelILj256ELj3ELj32EdEEv20rocsparse_direction_iiiNS_24const_host_device_scalarIT2_EEPKiS6_PKS3_S4_S6_S6_S8_S6_PiPS3_21rocsparse_index_base_SB_SB_b.num_named_barrier, 0
	.set _ZN9rocsparseL39bsrgeam_wf_per_row_multipass_2_3_kernelILj256ELj3ELj32EdEEv20rocsparse_direction_iiiNS_24const_host_device_scalarIT2_EEPKiS6_PKS3_S4_S6_S6_S8_S6_PiPS3_21rocsparse_index_base_SB_SB_b.private_seg_size, 0
	.set _ZN9rocsparseL39bsrgeam_wf_per_row_multipass_2_3_kernelILj256ELj3ELj32EdEEv20rocsparse_direction_iiiNS_24const_host_device_scalarIT2_EEPKiS6_PKS3_S4_S6_S6_S8_S6_PiPS3_21rocsparse_index_base_SB_SB_b.uses_vcc, 1
	.set _ZN9rocsparseL39bsrgeam_wf_per_row_multipass_2_3_kernelILj256ELj3ELj32EdEEv20rocsparse_direction_iiiNS_24const_host_device_scalarIT2_EEPKiS6_PKS3_S4_S6_S6_S8_S6_PiPS3_21rocsparse_index_base_SB_SB_b.uses_flat_scratch, 0
	.set _ZN9rocsparseL39bsrgeam_wf_per_row_multipass_2_3_kernelILj256ELj3ELj32EdEEv20rocsparse_direction_iiiNS_24const_host_device_scalarIT2_EEPKiS6_PKS3_S4_S6_S6_S8_S6_PiPS3_21rocsparse_index_base_SB_SB_b.has_dyn_sized_stack, 0
	.set _ZN9rocsparseL39bsrgeam_wf_per_row_multipass_2_3_kernelILj256ELj3ELj32EdEEv20rocsparse_direction_iiiNS_24const_host_device_scalarIT2_EEPKiS6_PKS3_S4_S6_S6_S8_S6_PiPS3_21rocsparse_index_base_SB_SB_b.has_recursion, 0
	.set _ZN9rocsparseL39bsrgeam_wf_per_row_multipass_2_3_kernelILj256ELj3ELj32EdEEv20rocsparse_direction_iiiNS_24const_host_device_scalarIT2_EEPKiS6_PKS3_S4_S6_S6_S8_S6_PiPS3_21rocsparse_index_base_SB_SB_b.has_indirect_call, 0
	.section	.AMDGPU.csdata,"",@progbits
; Kernel info:
; codeLenInByte = 3496
; TotalNumSgprs: 43
; NumVgprs: 78
; ScratchSize: 0
; MemoryBound: 0
; FloatMode: 240
; IeeeMode: 1
; LDSByteSize: 18688 bytes/workgroup (compile time only)
; SGPRBlocks: 12
; VGPRBlocks: 19
; NumSGPRsForWavesPerEU: 102
; NumVGPRsForWavesPerEU: 78
; Occupancy: 3
; WaveLimiterHint : 1
; COMPUTE_PGM_RSRC2:SCRATCH_EN: 0
; COMPUTE_PGM_RSRC2:USER_SGPR: 6
; COMPUTE_PGM_RSRC2:TRAP_HANDLER: 0
; COMPUTE_PGM_RSRC2:TGID_X_EN: 1
; COMPUTE_PGM_RSRC2:TGID_Y_EN: 0
; COMPUTE_PGM_RSRC2:TGID_Z_EN: 0
; COMPUTE_PGM_RSRC2:TIDIG_COMP_CNT: 0
	.section	.text._ZN9rocsparseL39bsrgeam_wf_per_row_multipass_2_3_kernelILj256ELj3ELj64EdEEv20rocsparse_direction_iiiNS_24const_host_device_scalarIT2_EEPKiS6_PKS3_S4_S6_S6_S8_S6_PiPS3_21rocsparse_index_base_SB_SB_b,"axG",@progbits,_ZN9rocsparseL39bsrgeam_wf_per_row_multipass_2_3_kernelILj256ELj3ELj64EdEEv20rocsparse_direction_iiiNS_24const_host_device_scalarIT2_EEPKiS6_PKS3_S4_S6_S6_S8_S6_PiPS3_21rocsparse_index_base_SB_SB_b,comdat
	.globl	_ZN9rocsparseL39bsrgeam_wf_per_row_multipass_2_3_kernelILj256ELj3ELj64EdEEv20rocsparse_direction_iiiNS_24const_host_device_scalarIT2_EEPKiS6_PKS3_S4_S6_S6_S8_S6_PiPS3_21rocsparse_index_base_SB_SB_b ; -- Begin function _ZN9rocsparseL39bsrgeam_wf_per_row_multipass_2_3_kernelILj256ELj3ELj64EdEEv20rocsparse_direction_iiiNS_24const_host_device_scalarIT2_EEPKiS6_PKS3_S4_S6_S6_S8_S6_PiPS3_21rocsparse_index_base_SB_SB_b
	.p2align	8
	.type	_ZN9rocsparseL39bsrgeam_wf_per_row_multipass_2_3_kernelILj256ELj3ELj64EdEEv20rocsparse_direction_iiiNS_24const_host_device_scalarIT2_EEPKiS6_PKS3_S4_S6_S6_S8_S6_PiPS3_21rocsparse_index_base_SB_SB_b,@function
_ZN9rocsparseL39bsrgeam_wf_per_row_multipass_2_3_kernelILj256ELj3ELj64EdEEv20rocsparse_direction_iiiNS_24const_host_device_scalarIT2_EEPKiS6_PKS3_S4_S6_S6_S8_S6_PiPS3_21rocsparse_index_base_SB_SB_b: ; @_ZN9rocsparseL39bsrgeam_wf_per_row_multipass_2_3_kernelILj256ELj3ELj64EdEEv20rocsparse_direction_iiiNS_24const_host_device_scalarIT2_EEPKiS6_PKS3_S4_S6_S6_S8_S6_PiPS3_21rocsparse_index_base_SB_SB_b
; %bb.0:
	s_load_dwordx4 s[8:11], s[4:5], 0x68
	s_load_dwordx2 s[12:13], s[4:5], 0x10
	s_load_dwordx2 s[0:1], s[4:5], 0x30
	s_waitcnt lgkmcnt(0)
	s_bitcmp1_b32 s11, 0
	s_cselect_b64 s[14:15], -1, 0
	v_mov_b32_e32 v4, s12
	s_xor_b64 s[2:3], s[14:15], -1
	s_and_b64 vcc, exec, s[14:15]
	v_mov_b32_e32 v5, s13
	s_cbranch_vccnz .LBB11_2
; %bb.1:
	v_mov_b32_e32 v1, s12
	v_mov_b32_e32 v2, s13
	flat_load_dwordx2 v[4:5], v[1:2]
.LBB11_2:
	v_mov_b32_e32 v7, s1
	s_andn2_b64 vcc, exec, s[2:3]
	v_mov_b32_e32 v6, s0
	s_cbranch_vccnz .LBB11_4
; %bb.3:
	v_mov_b32_e32 v2, s1
	v_mov_b32_e32 v1, s0
	flat_load_dwordx2 v[6:7], v[1:2]
.LBB11_4:
	s_load_dwordx4 s[12:15], s[4:5], 0x0
	s_lshl_b32 s0, s6, 2
	v_lshrrev_b32_e32 v3, 6, v0
	s_and_b32 s0, s0, 0x3fffffc
	v_or_b32_e32 v1, s0, v3
	s_waitcnt lgkmcnt(0)
	v_cmp_gt_i32_e32 vcc, s13, v1
	s_and_saveexec_b64 s[0:1], vcc
	s_cbranch_execz .LBB11_39
; %bb.5:
	s_load_dwordx4 s[16:19], s[4:5], 0x18
	s_load_dwordx4 s[20:23], s[4:5], 0x38
	s_load_dwordx2 s[0:1], s[4:5], 0x50
	v_lshlrev_b32_e32 v10, 2, v1
	s_waitcnt lgkmcnt(0)
	global_load_dwordx2 v[1:2], v10, s[16:17]
	global_load_dwordx2 v[8:9], v10, s[20:21]
	global_load_dword v13, v10, s[0:1]
	s_waitcnt vmcnt(0)
	v_subrev_u32_e32 v10, s8, v1
	v_cmp_lt_i32_e32 vcc, v1, v2
	v_mov_b32_e32 v1, s14
	s_and_saveexec_b64 s[0:1], vcc
	s_cbranch_execz .LBB11_7
; %bb.6:
	v_ashrrev_i32_e32 v11, 31, v10
	v_lshlrev_b64 v[11:12], 2, v[10:11]
	v_mov_b32_e32 v1, s19
	v_add_co_u32_e32 v11, vcc, s18, v11
	v_addc_co_u32_e32 v12, vcc, v1, v12, vcc
	global_load_dword v1, v[11:12], off
	s_waitcnt vmcnt(0)
	v_subrev_u32_e32 v1, s8, v1
.LBB11_7:
	s_or_b64 exec, exec, s[0:1]
	s_load_dwordx4 s[24:27], s[4:5], 0x58
	s_load_dwordx2 s[6:7], s[4:5], 0x28
	s_load_dwordx2 s[16:17], s[4:5], 0x48
	v_subrev_u32_e32 v11, s9, v8
	v_cmp_lt_i32_e32 vcc, v8, v9
	v_mov_b32_e32 v8, s14
	s_and_saveexec_b64 s[0:1], vcc
	s_cbranch_execz .LBB11_9
; %bb.8:
	v_ashrrev_i32_e32 v12, 31, v11
	v_lshlrev_b64 v[14:15], 2, v[11:12]
	v_mov_b32_e32 v8, s23
	v_add_co_u32_e32 v14, vcc, s22, v14
	v_addc_co_u32_e32 v15, vcc, v8, v15, vcc
	global_load_dword v8, v[14:15], off
	s_waitcnt vmcnt(0)
	v_subrev_u32_e32 v8, s9, v8
.LBB11_9:
	s_or_b64 exec, exec, s[0:1]
	v_and_b32_e32 v12, 0xc0, v0
	v_and_b32_e32 v0, 63, v0
	s_movk_i32 s0, 0x1200
	v_min_i32_e32 v49, v8, v1
	v_mul_u32_u24_e32 v1, 0x48, v0
	v_mad_u32_u24 v38, v3, s0, v1
	v_mbcnt_lo_u32_b32 v1, -1, 0
	v_mbcnt_hi_u32_b32 v1, -1, v1
	v_mul_u32_u24_e32 v34, 0x1200, v3
	v_subrev_u32_e32 v35, s8, v2
	v_and_b32_e32 v2, 64, v1
	v_xor_b32_e32 v3, 63, v0
	v_subrev_u32_e32 v37, s10, v13
	v_add_u32_e32 v2, 64, v2
	v_lshrrev_b64 v[13:14], v3, -1
	v_xor_b32_e32 v3, 32, v1
	v_cmp_lt_i32_e32 vcc, v3, v2
	v_cndmask_b32_e32 v3, v1, v3, vcc
	v_lshlrev_b32_e32 v40, 2, v3
	v_xor_b32_e32 v3, 16, v1
	v_cmp_lt_i32_e32 vcc, v3, v2
	v_cndmask_b32_e32 v3, v1, v3, vcc
	v_lshlrev_b32_e32 v41, 2, v3
	;; [unrolled: 4-line block ×4, first 2 shown]
	v_xor_b32_e32 v3, 2, v1
	v_cmp_lt_i32_e32 vcc, v3, v2
	v_cndmask_b32_e32 v3, v1, v3, vcc
	s_mov_b32 s0, 0
	s_cmp_lg_u32 s12, 0
	v_lshlrev_b32_e32 v44, 2, v3
	v_xor_b32_e32 v3, 1, v1
	v_or_b32_e32 v33, 0x4800, v12
	s_cselect_b64 s[2:3], -1, 0
	v_cmp_lt_i32_e32 vcc, v3, v2
	s_mov_b32 s1, s0
	s_mov_b32 s5, s0
	v_add_u32_e32 v8, v10, v0
	v_add_u32_e32 v10, v11, v0
	v_mov_b32_e32 v12, 0
	s_cmp_eq_u32 s12, 0
	v_add_u32_e32 v39, s10, v0
	v_cndmask_b32_e32 v1, v1, v3, vcc
	v_add_u32_e32 v46, v33, v0
	s_mov_b32 s4, s0
	v_mov_b32_e32 v16, s1
	v_mov_b32_e32 v18, s5
	v_cndmask_b32_e64 v0, 0, 1, s[2:3]
	v_subrev_u32_e32 v36, s9, v9
	s_movk_i32 s15, 0x48
	v_lshlrev_b32_e32 v45, 2, v1
	s_cselect_b32 s33, 8, 24
	s_cselect_b32 s34, 16, 48
	;; [unrolled: 1-line block ×6, first 2 shown]
	s_mov_b64 s[10:11], 0
	v_mov_b32_e32 v15, s0
	v_mov_b32_e32 v17, s4
	;; [unrolled: 1-line block ×5, first 2 shown]
	v_cmp_ne_u32_e64 s[0:1], 1, v0
	s_branch .LBB11_11
.LBB11_10:                              ;   in Loop: Header=BB11_11 Depth=1
	s_or_b64 exec, exec, s[4:5]
	ds_bpermute_b32 v0, v40, v48
	s_bcnt1_i32_b64 s2, vcc
	v_add_u32_e32 v37, s2, v37
	s_waitcnt lgkmcnt(0)
	v_min_i32_e32 v0, v0, v48
	ds_bpermute_b32 v1, v41, v0
	s_waitcnt lgkmcnt(0)
	v_min_i32_e32 v0, v1, v0
	ds_bpermute_b32 v1, v42, v0
	;; [unrolled: 3-line block ×5, first 2 shown]
	s_waitcnt lgkmcnt(0)
	v_min_i32_e32 v49, v1, v0
	v_cmp_le_i32_e32 vcc, s14, v49
	s_or_b64 s[10:11], vcc, s[10:11]
	s_andn2_b64 exec, exec, s[10:11]
	s_cbranch_execz .LBB11_39
.LBB11_11:                              ; =>This Loop Header: Depth=1
                                        ;     Child Loop BB11_14 Depth 2
                                        ;     Child Loop BB11_27 Depth 2
	v_cmp_lt_i32_e32 vcc, v8, v35
	v_mov_b32_e32 v48, s14
	ds_write_b8 v46, v12
	ds_write2_b64 v38, v[15:16], v[17:18] offset1:1
	ds_write2_b64 v38, v[15:16], v[17:18] offset0:2 offset1:3
	ds_write2_b64 v38, v[15:16], v[17:18] offset0:4 offset1:5
	;; [unrolled: 1-line block ×3, first 2 shown]
	ds_write_b64 v38, v[19:20] offset:64
	s_waitcnt lgkmcnt(0)
	s_and_saveexec_b64 s[12:13], vcc
	s_cbranch_execz .LBB11_24
; %bb.12:                               ;   in Loop: Header=BB11_11 Depth=1
	v_mad_u64_u32 v[0:1], s[2:3], v8, 9, 8
	s_mov_b64 s[20:21], 0
	v_mov_b32_e32 v48, s14
	s_branch .LBB11_14
.LBB11_13:                              ;   in Loop: Header=BB11_14 Depth=2
	s_or_b64 exec, exec, s[28:29]
	s_and_b64 s[2:3], exec, s[4:5]
	s_or_b64 s[20:21], s[2:3], s[20:21]
	s_andn2_b64 exec, exec, s[20:21]
	s_cbranch_execz .LBB11_23
.LBB11_14:                              ;   Parent Loop BB11_11 Depth=1
                                        ; =>  This Inner Loop Header: Depth=2
	v_ashrrev_i32_e32 v9, 31, v8
	v_lshlrev_b64 v[1:2], 2, v[8:9]
	v_mov_b32_e32 v3, s19
	v_add_co_u32_e32 v1, vcc, s18, v1
	v_addc_co_u32_e32 v2, vcc, v3, v2, vcc
	global_load_dword v1, v[1:2], off
	s_waitcnt vmcnt(0)
	v_subrev_u32_e32 v2, s8, v1
	v_sub_u32_e32 v1, v2, v49
	v_cmp_gt_u32_e64 s[2:3], 64, v1
	v_cmp_lt_u32_e32 vcc, 63, v1
	s_and_saveexec_b64 s[4:5], vcc
	s_xor_b64 s[4:5], exec, s[4:5]
; %bb.15:                               ;   in Loop: Header=BB11_14 Depth=2
	v_min_i32_e32 v48, v2, v48
                                        ; implicit-def: $vgpr1
; %bb.16:                               ;   in Loop: Header=BB11_14 Depth=2
	s_andn2_saveexec_b64 s[28:29], s[4:5]
	s_cbranch_execz .LBB11_21
; %bb.17:                               ;   in Loop: Header=BB11_14 Depth=2
	v_add_u32_e32 v11, -8, v0
	v_lshlrev_b64 v[2:3], 3, v[11:12]
	v_mov_b32_e32 v9, s7
	v_add_co_u32_e32 v2, vcc, s6, v2
	v_addc_co_u32_e32 v3, vcc, v9, v3, vcc
	global_load_dwordx2 v[22:23], v[2:3], off
	v_add_u32_e32 v3, v33, v1
	v_mul_lo_u32 v1, v1, s15
	v_add_u32_e32 v11, -4, v0
	v_lshlrev_b64 v[25:26], 3, v[11:12]
	v_mov_b32_e32 v24, s7
	v_add_u32_e32 v9, v34, v1
	v_add_co_u32_e64 v25, s[4:5], s6, v25
	s_mov_b64 s[30:31], -1
	s_and_b64 vcc, exec, s[0:1]
	v_add_u32_e32 v21, -2, v0
	v_add_u32_e32 v29, -7, v0
	;; [unrolled: 1-line block ×5, first 2 shown]
	v_addc_co_u32_e64 v26, s[4:5], v24, v26, s[4:5]
	ds_write_b8 v3, v47
	s_waitcnt vmcnt(0)
	v_mul_f64 v[22:23], v[4:5], v[22:23]
	ds_write_b64 v9, v[22:23]
	v_add_u32_e32 v23, -3, v0
	s_cbranch_vccnz .LBB11_19
; %bb.18:                               ;   in Loop: Header=BB11_14 Depth=2
	v_lshlrev_b64 v[30:31], 3, v[11:12]
	v_mov_b32_e32 v1, s7
	v_add_co_u32_e32 v50, vcc, s6, v30
	v_mov_b32_e32 v22, v12
	v_addc_co_u32_e32 v51, vcc, v1, v31, vcc
	v_lshlrev_b64 v[30:31], 3, v[21:22]
	v_mov_b32_e32 v3, v12
	v_add_co_u32_e32 v52, vcc, s6, v30
	v_mov_b32_e32 v30, v12
	v_addc_co_u32_e32 v53, vcc, v1, v31, vcc
	v_lshlrev_b64 v[30:31], 3, v[29:30]
	v_mov_b32_e32 v28, v12
	v_add_co_u32_e32 v30, vcc, s6, v30
	v_addc_co_u32_e32 v31, vcc, v1, v31, vcc
	global_load_dwordx2 v[54:55], v[50:51], off
	global_load_dwordx2 v[56:57], v[52:53], off
	;; [unrolled: 1-line block ×4, first 2 shown]
	v_lshlrev_b64 v[30:31], 3, v[2:3]
	v_lshlrev_b64 v[50:51], 3, v[27:28]
	v_add_co_u32_e32 v30, vcc, s6, v30
	v_addc_co_u32_e32 v31, vcc, v1, v31, vcc
	v_mov_b32_e32 v24, v12
	v_add_co_u32_e32 v50, vcc, s6, v50
	v_lshlrev_b64 v[52:53], 3, v[23:24]
	v_addc_co_u32_e32 v51, vcc, v1, v51, vcc
	v_add_co_u32_e32 v52, vcc, s6, v52
	v_addc_co_u32_e32 v53, vcc, v1, v53, vcc
	v_mov_b32_e32 v1, v12
	v_lshlrev_b64 v[62:63], 3, v[0:1]
	v_mov_b32_e32 v1, s7
	v_add_co_u32_e32 v62, vcc, s6, v62
	v_addc_co_u32_e32 v63, vcc, v1, v63, vcc
	global_load_dwordx2 v[64:65], v[30:31], off
	global_load_dwordx2 v[66:67], v[50:51], off
	;; [unrolled: 1-line block ×4, first 2 shown]
	s_mov_b64 s[30:31], 0
	s_waitcnt vmcnt(7)
	v_mul_f64 v[30:31], v[4:5], v[54:55]
	s_waitcnt vmcnt(6)
	v_mul_f64 v[50:51], v[4:5], v[56:57]
	;; [unrolled: 2-line block ×8, first 2 shown]
	ds_write2_b64 v9, v[30:31], v[50:51] offset0:1 offset1:2
	ds_write2_b64 v9, v[52:53], v[54:55] offset0:3 offset1:4
	;; [unrolled: 1-line block ×4, first 2 shown]
.LBB11_19:                              ;   in Loop: Header=BB11_14 Depth=2
	s_andn2_b64 vcc, exec, s[30:31]
	s_cbranch_vccnz .LBB11_21
; %bb.20:                               ;   in Loop: Header=BB11_14 Depth=2
	v_mov_b32_e32 v30, v12
	v_lshlrev_b64 v[28:29], 3, v[29:30]
	v_mov_b32_e32 v1, s7
	v_add_co_u32_e32 v30, vcc, s6, v28
	v_mov_b32_e32 v28, v12
	v_lshlrev_b64 v[27:28], 3, v[27:28]
	v_addc_co_u32_e32 v31, vcc, v1, v29, vcc
	v_add_co_u32_e32 v27, vcc, s6, v27
	v_lshlrev_b64 v[50:51], 3, v[11:12]
	v_addc_co_u32_e32 v28, vcc, v1, v28, vcc
	v_mov_b32_e32 v24, v12
	v_add_co_u32_e32 v50, vcc, s6, v50
	v_lshlrev_b64 v[22:23], 3, v[23:24]
	v_addc_co_u32_e32 v51, vcc, v1, v51, vcc
	v_add_co_u32_e32 v24, vcc, s6, v22
	v_mov_b32_e32 v22, v12
	v_lshlrev_b64 v[21:22], 3, v[21:22]
	global_load_dwordx2 v[52:53], v[30:31], off
	global_load_dwordx2 v[54:55], v[27:28], off
	global_load_dwordx2 v[56:57], v[50:51], off
	global_load_dwordx2 v[58:59], v[25:26], off
	v_addc_co_u32_e32 v25, vcc, v1, v23, vcc
	v_add_co_u32_e32 v21, vcc, s6, v21
	v_mov_b32_e32 v3, v12
	v_addc_co_u32_e32 v22, vcc, v1, v22, vcc
	v_lshlrev_b64 v[1:2], 3, v[2:3]
	v_mov_b32_e32 v3, s7
	v_add_co_u32_e32 v26, vcc, s6, v1
	v_mov_b32_e32 v1, v12
	v_addc_co_u32_e32 v27, vcc, v3, v2, vcc
	v_lshlrev_b64 v[1:2], 3, v[0:1]
	v_add_co_u32_e32 v1, vcc, s6, v1
	v_addc_co_u32_e32 v2, vcc, v3, v2, vcc
	global_load_dwordx2 v[28:29], v[24:25], off
	global_load_dwordx2 v[30:31], v[21:22], off
	;; [unrolled: 1-line block ×4, first 2 shown]
	s_waitcnt vmcnt(7)
	v_mul_f64 v[1:2], v[4:5], v[52:53]
	s_waitcnt vmcnt(6)
	v_mul_f64 v[21:22], v[4:5], v[54:55]
	s_waitcnt vmcnt(5)
	v_mul_f64 v[23:24], v[4:5], v[56:57]
	s_waitcnt vmcnt(4)
	v_mul_f64 v[25:26], v[4:5], v[58:59]
	s_waitcnt vmcnt(3)
	v_mul_f64 v[27:28], v[4:5], v[28:29]
	s_waitcnt vmcnt(2)
	v_mul_f64 v[29:30], v[4:5], v[30:31]
	s_waitcnt vmcnt(1)
	v_mul_f64 v[31:32], v[4:5], v[50:51]
	s_waitcnt vmcnt(0)
	v_mul_f64 v[50:51], v[4:5], v[60:61]
	ds_write2_b64 v9, v[1:2], v[21:22] offset0:1 offset1:2
	ds_write2_b64 v9, v[23:24], v[25:26] offset0:3 offset1:4
	;; [unrolled: 1-line block ×4, first 2 shown]
.LBB11_21:                              ;   in Loop: Header=BB11_14 Depth=2
	s_or_b64 exec, exec, s[28:29]
	s_mov_b64 s[4:5], -1
	s_and_saveexec_b64 s[28:29], s[2:3]
	s_cbranch_execz .LBB11_13
; %bb.22:                               ;   in Loop: Header=BB11_14 Depth=2
	v_add_u32_e32 v8, 64, v8
	v_cmp_ge_i32_e32 vcc, v8, v35
	v_add_u32_e32 v0, 0x240, v0
	s_orn2_b64 s[4:5], vcc, exec
	s_branch .LBB11_13
.LBB11_23:                              ;   in Loop: Header=BB11_11 Depth=1
	s_or_b64 exec, exec, s[20:21]
.LBB11_24:                              ;   in Loop: Header=BB11_11 Depth=1
	s_or_b64 exec, exec, s[12:13]
	v_cmp_lt_i32_e32 vcc, v10, v36
	s_waitcnt lgkmcnt(0)
	s_and_saveexec_b64 s[12:13], vcc
	s_cbranch_execz .LBB11_37
; %bb.25:                               ;   in Loop: Header=BB11_11 Depth=1
	v_mad_u64_u32 v[21:22], s[2:3], v10, 9, 8
	s_mov_b64 s[20:21], 0
	s_branch .LBB11_27
.LBB11_26:                              ;   in Loop: Header=BB11_27 Depth=2
	s_or_b64 exec, exec, s[28:29]
	s_and_b64 s[2:3], exec, s[4:5]
	s_or_b64 s[20:21], s[2:3], s[20:21]
	s_andn2_b64 exec, exec, s[20:21]
	s_cbranch_execz .LBB11_36
.LBB11_27:                              ;   Parent Loop BB11_11 Depth=1
                                        ; =>  This Inner Loop Header: Depth=2
	v_ashrrev_i32_e32 v11, 31, v10
	v_lshlrev_b64 v[0:1], 2, v[10:11]
	v_mov_b32_e32 v2, s23
	v_add_co_u32_e32 v0, vcc, s22, v0
	v_addc_co_u32_e32 v1, vcc, v2, v1, vcc
	global_load_dword v0, v[0:1], off
	s_waitcnt vmcnt(0)
	v_subrev_u32_e32 v1, s9, v0
	v_sub_u32_e32 v0, v1, v49
	v_cmp_gt_u32_e64 s[2:3], 64, v0
	v_cmp_lt_u32_e32 vcc, 63, v0
	s_and_saveexec_b64 s[4:5], vcc
	s_xor_b64 s[4:5], exec, s[4:5]
; %bb.28:                               ;   in Loop: Header=BB11_27 Depth=2
	v_min_i32_e32 v48, v1, v48
                                        ; implicit-def: $vgpr0
; %bb.29:                               ;   in Loop: Header=BB11_27 Depth=2
	s_andn2_saveexec_b64 s[28:29], s[4:5]
	s_cbranch_execz .LBB11_34
; %bb.30:                               ;   in Loop: Header=BB11_27 Depth=2
	v_add_u32_e32 v11, -8, v21
	v_lshlrev_b64 v[1:2], 3, v[11:12]
	v_mov_b32_e32 v3, s17
	v_add_co_u32_e32 v1, vcc, s16, v1
	v_addc_co_u32_e32 v2, vcc, v3, v2, vcc
	global_load_dwordx2 v[26:27], v[1:2], off
	v_add_u32_e32 v11, v33, v0
	v_mul_lo_u32 v0, v0, s15
	ds_write_b8 v11, v47
	v_add_u32_e32 v11, -4, v21
	v_mov_b32_e32 v22, s17
	v_add_u32_e32 v9, v34, v0
	ds_read2_b64 v[0:3], v9 offset1:1
	s_mov_b64 s[30:31], -1
	s_and_b64 vcc, exec, s[0:1]
	v_add_u32_e32 v25, -2, v21
	v_add_u32_e32 v31, -7, v21
	;; [unrolled: 1-line block ×4, first 2 shown]
	s_waitcnt vmcnt(0) lgkmcnt(0)
	v_fma_f64 v[0:1], v[6:7], v[26:27], v[0:1]
	v_lshlrev_b64 v[27:28], 3, v[11:12]
	v_add_u32_e32 v11, -5, v21
	v_add_co_u32_e64 v27, s[4:5], s16, v27
	v_addc_co_u32_e64 v28, s[4:5], v22, v28, s[4:5]
	ds_write_b64 v9, v[0:1]
	v_add_u32_e32 v0, -3, v21
	s_cbranch_vccnz .LBB11_32
; %bb.31:                               ;   in Loop: Header=BB11_27 Depth=2
	v_lshlrev_b64 v[50:51], 3, v[11:12]
	v_mov_b32_e32 v26, v12
	v_mov_b32_e32 v1, s17
	v_add_co_u32_e32 v50, vcc, s16, v50
	v_lshlrev_b64 v[52:53], 3, v[25:26]
	v_addc_co_u32_e32 v51, vcc, v1, v51, vcc
	v_mov_b32_e32 v32, v12
	v_add_co_u32_e32 v52, vcc, s16, v52
	v_lshlrev_b64 v[54:55], 3, v[31:32]
	v_addc_co_u32_e32 v53, vcc, v1, v53, vcc
	;; [unrolled: 4-line block ×3, first 2 shown]
	v_add_co_u32_e32 v56, vcc, s16, v56
	v_mov_b32_e32 v30, v12
	global_load_dwordx2 v[62:63], v[27:28], off
	v_addc_co_u32_e32 v57, vcc, v1, v57, vcc
	global_load_dwordx2 v[64:65], v[50:51], off
	global_load_dwordx2 v[66:67], v[52:53], off
	;; [unrolled: 1-line block ×4, first 2 shown]
	v_lshlrev_b64 v[50:51], 3, v[29:30]
	v_mov_b32_e32 v22, v12
	v_add_co_u32_e32 v50, vcc, s16, v50
	v_addc_co_u32_e32 v51, vcc, v1, v51, vcc
	v_mov_b32_e32 v1, v12
	v_lshlrev_b64 v[52:53], 3, v[0:1]
	v_mov_b32_e32 v1, s17
	v_add_co_u32_e32 v52, vcc, s16, v52
	v_lshlrev_b64 v[54:55], 3, v[21:22]
	v_addc_co_u32_e32 v53, vcc, v1, v53, vcc
	v_add_co_u32_e32 v54, vcc, s16, v54
	v_addc_co_u32_e32 v55, vcc, v1, v55, vcc
	global_load_dwordx2 v[72:73], v[50:51], off
	global_load_dwordx2 v[74:75], v[52:53], off
	;; [unrolled: 1-line block ×3, first 2 shown]
	ds_read2_b64 v[50:53], v9 offset0:4 offset1:5
	ds_read2_b64 v[54:57], v9 offset0:2 offset1:3
	;; [unrolled: 1-line block ×3, first 2 shown]
	ds_read_b64 v[78:79], v9 offset:64
	s_mov_b64 s[30:31], 0
	s_waitcnt vmcnt(7) lgkmcnt(3)
	v_fma_f64 v[50:51], v[6:7], v[62:63], v[50:51]
	s_waitcnt vmcnt(6)
	v_fma_f64 v[62:63], v[6:7], v[64:65], v[2:3]
	s_waitcnt vmcnt(5) lgkmcnt(2)
	v_fma_f64 v[54:55], v[6:7], v[66:67], v[54:55]
	s_waitcnt vmcnt(4)
	v_fma_f64 v[56:57], v[6:7], v[68:69], v[56:57]
	s_waitcnt vmcnt(3)
	v_fma_f64 v[52:53], v[6:7], v[70:71], v[52:53]
	s_waitcnt vmcnt(2) lgkmcnt(1)
	v_fma_f64 v[58:59], v[6:7], v[72:73], v[58:59]
	s_waitcnt vmcnt(1)
	v_fma_f64 v[60:61], v[6:7], v[74:75], v[60:61]
	s_waitcnt vmcnt(0) lgkmcnt(0)
	v_fma_f64 v[64:65], v[6:7], v[76:77], v[78:79]
	ds_write2_b64 v9, v[62:63], v[54:55] offset0:1 offset1:2
	ds_write2_b64 v9, v[56:57], v[50:51] offset0:3 offset1:4
	;; [unrolled: 1-line block ×4, first 2 shown]
.LBB11_32:                              ;   in Loop: Header=BB11_27 Depth=2
	s_andn2_b64 vcc, exec, s[30:31]
	s_cbranch_vccnz .LBB11_34
; %bb.33:                               ;   in Loop: Header=BB11_27 Depth=2
	v_mov_b32_e32 v32, v12
	v_lshlrev_b64 v[30:31], 3, v[31:32]
	v_mov_b32_e32 v1, s17
	v_add_co_u32_e32 v50, vcc, s16, v30
	v_mov_b32_e32 v30, v12
	v_lshlrev_b64 v[29:30], 3, v[29:30]
	v_addc_co_u32_e32 v51, vcc, v1, v31, vcc
	v_add_co_u32_e32 v29, vcc, s16, v29
	v_lshlrev_b64 v[31:32], 3, v[11:12]
	v_addc_co_u32_e32 v30, vcc, v1, v30, vcc
	v_add_co_u32_e32 v31, vcc, s16, v31
	v_addc_co_u32_e32 v32, vcc, v1, v32, vcc
	v_mov_b32_e32 v1, v12
	v_lshlrev_b64 v[0:1], 3, v[0:1]
	v_mov_b32_e32 v11, s17
	v_add_co_u32_e32 v0, vcc, s16, v0
	v_addc_co_u32_e32 v1, vcc, v11, v1, vcc
	v_mov_b32_e32 v26, v12
	global_load_dwordx2 v[54:55], v[27:28], off
	global_load_dwordx2 v[56:57], v[50:51], off
	;; [unrolled: 1-line block ×5, first 2 shown]
	v_lshlrev_b64 v[0:1], 3, v[25:26]
	v_mov_b32_e32 v24, v12
	v_add_co_u32_e32 v0, vcc, s16, v0
	v_lshlrev_b64 v[22:23], 3, v[23:24]
	v_addc_co_u32_e32 v1, vcc, v11, v1, vcc
	v_add_co_u32_e32 v24, vcc, s16, v22
	v_mov_b32_e32 v22, v12
	v_addc_co_u32_e32 v25, vcc, v11, v23, vcc
	v_lshlrev_b64 v[22:23], 3, v[21:22]
	v_add_co_u32_e32 v22, vcc, s16, v22
	v_addc_co_u32_e32 v23, vcc, v11, v23, vcc
	global_load_dwordx2 v[30:31], v[0:1], off
	global_load_dwordx2 v[64:65], v[24:25], off
	;; [unrolled: 1-line block ×3, first 2 shown]
	ds_read2_b64 v[22:25], v9 offset0:4 offset1:5
	ds_read2_b64 v[26:29], v9 offset0:2 offset1:3
	;; [unrolled: 1-line block ×3, first 2 shown]
	ds_read_b64 v[0:1], v9 offset:64
	s_waitcnt vmcnt(6)
	v_fma_f64 v[2:3], v[6:7], v[56:57], v[2:3]
	s_waitcnt vmcnt(5) lgkmcnt(2)
	v_fma_f64 v[26:27], v[6:7], v[58:59], v[26:27]
	v_fma_f64 v[22:23], v[6:7], v[54:55], v[22:23]
	s_waitcnt vmcnt(4)
	v_fma_f64 v[28:29], v[6:7], v[60:61], v[28:29]
	s_waitcnt vmcnt(3)
	v_fma_f64 v[24:25], v[6:7], v[62:63], v[24:25]
	s_waitcnt vmcnt(2) lgkmcnt(1)
	v_fma_f64 v[30:31], v[6:7], v[30:31], v[50:51]
	s_waitcnt vmcnt(1)
	v_fma_f64 v[50:51], v[6:7], v[64:65], v[52:53]
	s_waitcnt vmcnt(0) lgkmcnt(0)
	v_fma_f64 v[0:1], v[6:7], v[66:67], v[0:1]
	ds_write2_b64 v9, v[2:3], v[26:27] offset0:1 offset1:2
	ds_write2_b64 v9, v[28:29], v[22:23] offset0:3 offset1:4
	;; [unrolled: 1-line block ×4, first 2 shown]
.LBB11_34:                              ;   in Loop: Header=BB11_27 Depth=2
	s_or_b64 exec, exec, s[28:29]
	s_mov_b64 s[4:5], -1
	s_and_saveexec_b64 s[28:29], s[2:3]
	s_cbranch_execz .LBB11_26
; %bb.35:                               ;   in Loop: Header=BB11_27 Depth=2
	v_add_u32_e32 v10, 64, v10
	v_cmp_ge_i32_e32 vcc, v10, v36
	v_add_u32_e32 v21, 0x240, v21
	s_orn2_b64 s[4:5], vcc, exec
	s_branch .LBB11_26
.LBB11_36:                              ;   in Loop: Header=BB11_11 Depth=1
	s_or_b64 exec, exec, s[20:21]
.LBB11_37:                              ;   in Loop: Header=BB11_11 Depth=1
	s_or_b64 exec, exec, s[12:13]
	s_waitcnt lgkmcnt(0)
	ds_read_u8 v0, v46
	s_waitcnt lgkmcnt(0)
	v_and_b32_e32 v1, 1, v0
	v_cmp_eq_u32_e64 s[2:3], 1, v1
	v_cmp_ne_u16_e32 vcc, 0, v0
	s_and_saveexec_b64 s[4:5], s[2:3]
	s_cbranch_execz .LBB11_10
; %bb.38:                               ;   in Loop: Header=BB11_11 Depth=1
	v_and_b32_e32 v1, vcc_lo, v13
	v_and_b32_e32 v0, vcc_hi, v14
	v_bcnt_u32_b32 v1, v1, 0
	v_bcnt_u32_b32 v0, v0, v1
	v_add3_u32 v0, v37, v0, -1
	v_ashrrev_i32_e32 v1, 31, v0
	v_lshlrev_b64 v[1:2], 2, v[0:1]
	v_mov_b32_e32 v9, s25
	v_add_co_u32_e64 v1, s[2:3], s24, v1
	v_add_u32_e32 v3, v39, v49
	v_addc_co_u32_e64 v2, s[2:3], v9, v2, s[2:3]
	global_store_dword v[1:2], v3, off
	v_lshl_add_u32 v11, v0, 3, v0
	ds_read2_b64 v[0:3], v38 offset1:4
	v_lshlrev_b64 v[21:22], 3, v[11:12]
	v_mov_b32_e32 v9, s27
	v_add_co_u32_e64 v21, s[2:3], s26, v21
	v_addc_co_u32_e64 v22, s[2:3], v9, v22, s[2:3]
	s_waitcnt lgkmcnt(0)
	global_store_dwordx2 v[21:22], v[0:1], off
	v_add_u32_e32 v0, 1, v11
	v_mov_b32_e32 v1, v12
	v_lshlrev_b64 v[0:1], 3, v[0:1]
	v_add_u32_e32 v21, 2, v11
	v_mov_b32_e32 v22, v12
	v_add_co_u32_e64 v0, s[2:3], s26, v0
	v_lshlrev_b64 v[21:22], 3, v[21:22]
	v_addc_co_u32_e64 v1, s[2:3], v9, v1, s[2:3]
	v_add_u32_e32 v23, 3, v11
	v_mov_b32_e32 v24, v12
	v_add_co_u32_e64 v21, s[2:3], s26, v21
	v_lshlrev_b64 v[23:24], 3, v[23:24]
	v_addc_co_u32_e64 v22, s[2:3], v9, v22, s[2:3]
	;; [unrolled: 5-line block ×6, first 2 shown]
	v_add_u32_e32 v11, 8, v11
	v_add_co_u32_e64 v31, s[2:3], s26, v31
	v_lshlrev_b64 v[49:50], 3, v[11:12]
	v_addc_co_u32_e64 v32, s[2:3], v9, v32, s[2:3]
	v_add_co_u32_e64 v49, s[2:3], s26, v49
	v_addc_co_u32_e64 v50, s[2:3], v9, v50, s[2:3]
	v_add_u32_e32 v9, s33, v38
	v_add_u32_e32 v11, s34, v38
	ds_read_b64 v[51:52], v9
	ds_read_b64 v[53:54], v11
	v_add_u32_e32 v9, s35, v38
	ds_read_b64 v[55:56], v9
	ds_read_b64 v[57:58], v38 offset:64
	s_waitcnt lgkmcnt(3)
	global_store_dwordx2 v[0:1], v[51:52], off
	s_waitcnt lgkmcnt(2)
	global_store_dwordx2 v[21:22], v[53:54], off
	v_add_u32_e32 v0, s36, v38
	v_add_u32_e32 v9, s37, v38
	;; [unrolled: 1-line block ×3, first 2 shown]
	ds_read_b64 v[0:1], v0
	ds_read_b64 v[21:22], v9
	;; [unrolled: 1-line block ×3, first 2 shown]
	s_waitcnt lgkmcnt(4)
	global_store_dwordx2 v[23:24], v[55:56], off
	global_store_dwordx2 v[25:26], v[2:3], off
	s_waitcnt lgkmcnt(2)
	global_store_dwordx2 v[27:28], v[0:1], off
	s_waitcnt lgkmcnt(1)
	;; [unrolled: 2-line block ×3, first 2 shown]
	global_store_dwordx2 v[31:32], v[51:52], off
	global_store_dwordx2 v[49:50], v[57:58], off
	s_branch .LBB11_10
.LBB11_39:
	s_endpgm
	.section	.rodata,"a",@progbits
	.p2align	6, 0x0
	.amdhsa_kernel _ZN9rocsparseL39bsrgeam_wf_per_row_multipass_2_3_kernelILj256ELj3ELj64EdEEv20rocsparse_direction_iiiNS_24const_host_device_scalarIT2_EEPKiS6_PKS3_S4_S6_S6_S8_S6_PiPS3_21rocsparse_index_base_SB_SB_b
		.amdhsa_group_segment_fixed_size 18688
		.amdhsa_private_segment_fixed_size 0
		.amdhsa_kernarg_size 120
		.amdhsa_user_sgpr_count 6
		.amdhsa_user_sgpr_private_segment_buffer 1
		.amdhsa_user_sgpr_dispatch_ptr 0
		.amdhsa_user_sgpr_queue_ptr 0
		.amdhsa_user_sgpr_kernarg_segment_ptr 1
		.amdhsa_user_sgpr_dispatch_id 0
		.amdhsa_user_sgpr_flat_scratch_init 0
		.amdhsa_user_sgpr_private_segment_size 0
		.amdhsa_uses_dynamic_stack 0
		.amdhsa_system_sgpr_private_segment_wavefront_offset 0
		.amdhsa_system_sgpr_workgroup_id_x 1
		.amdhsa_system_sgpr_workgroup_id_y 0
		.amdhsa_system_sgpr_workgroup_id_z 0
		.amdhsa_system_sgpr_workgroup_info 0
		.amdhsa_system_vgpr_workitem_id 0
		.amdhsa_next_free_vgpr 80
		.amdhsa_next_free_sgpr 98
		.amdhsa_reserve_vcc 1
		.amdhsa_reserve_flat_scratch 0
		.amdhsa_float_round_mode_32 0
		.amdhsa_float_round_mode_16_64 0
		.amdhsa_float_denorm_mode_32 3
		.amdhsa_float_denorm_mode_16_64 3
		.amdhsa_dx10_clamp 1
		.amdhsa_ieee_mode 1
		.amdhsa_fp16_overflow 0
		.amdhsa_exception_fp_ieee_invalid_op 0
		.amdhsa_exception_fp_denorm_src 0
		.amdhsa_exception_fp_ieee_div_zero 0
		.amdhsa_exception_fp_ieee_overflow 0
		.amdhsa_exception_fp_ieee_underflow 0
		.amdhsa_exception_fp_ieee_inexact 0
		.amdhsa_exception_int_div_zero 0
	.end_amdhsa_kernel
	.section	.text._ZN9rocsparseL39bsrgeam_wf_per_row_multipass_2_3_kernelILj256ELj3ELj64EdEEv20rocsparse_direction_iiiNS_24const_host_device_scalarIT2_EEPKiS6_PKS3_S4_S6_S6_S8_S6_PiPS3_21rocsparse_index_base_SB_SB_b,"axG",@progbits,_ZN9rocsparseL39bsrgeam_wf_per_row_multipass_2_3_kernelILj256ELj3ELj64EdEEv20rocsparse_direction_iiiNS_24const_host_device_scalarIT2_EEPKiS6_PKS3_S4_S6_S6_S8_S6_PiPS3_21rocsparse_index_base_SB_SB_b,comdat
.Lfunc_end11:
	.size	_ZN9rocsparseL39bsrgeam_wf_per_row_multipass_2_3_kernelILj256ELj3ELj64EdEEv20rocsparse_direction_iiiNS_24const_host_device_scalarIT2_EEPKiS6_PKS3_S4_S6_S6_S8_S6_PiPS3_21rocsparse_index_base_SB_SB_b, .Lfunc_end11-_ZN9rocsparseL39bsrgeam_wf_per_row_multipass_2_3_kernelILj256ELj3ELj64EdEEv20rocsparse_direction_iiiNS_24const_host_device_scalarIT2_EEPKiS6_PKS3_S4_S6_S6_S8_S6_PiPS3_21rocsparse_index_base_SB_SB_b
                                        ; -- End function
	.set _ZN9rocsparseL39bsrgeam_wf_per_row_multipass_2_3_kernelILj256ELj3ELj64EdEEv20rocsparse_direction_iiiNS_24const_host_device_scalarIT2_EEPKiS6_PKS3_S4_S6_S6_S8_S6_PiPS3_21rocsparse_index_base_SB_SB_b.num_vgpr, 80
	.set _ZN9rocsparseL39bsrgeam_wf_per_row_multipass_2_3_kernelILj256ELj3ELj64EdEEv20rocsparse_direction_iiiNS_24const_host_device_scalarIT2_EEPKiS6_PKS3_S4_S6_S6_S8_S6_PiPS3_21rocsparse_index_base_SB_SB_b.num_agpr, 0
	.set _ZN9rocsparseL39bsrgeam_wf_per_row_multipass_2_3_kernelILj256ELj3ELj64EdEEv20rocsparse_direction_iiiNS_24const_host_device_scalarIT2_EEPKiS6_PKS3_S4_S6_S6_S8_S6_PiPS3_21rocsparse_index_base_SB_SB_b.numbered_sgpr, 39
	.set _ZN9rocsparseL39bsrgeam_wf_per_row_multipass_2_3_kernelILj256ELj3ELj64EdEEv20rocsparse_direction_iiiNS_24const_host_device_scalarIT2_EEPKiS6_PKS3_S4_S6_S6_S8_S6_PiPS3_21rocsparse_index_base_SB_SB_b.num_named_barrier, 0
	.set _ZN9rocsparseL39bsrgeam_wf_per_row_multipass_2_3_kernelILj256ELj3ELj64EdEEv20rocsparse_direction_iiiNS_24const_host_device_scalarIT2_EEPKiS6_PKS3_S4_S6_S6_S8_S6_PiPS3_21rocsparse_index_base_SB_SB_b.private_seg_size, 0
	.set _ZN9rocsparseL39bsrgeam_wf_per_row_multipass_2_3_kernelILj256ELj3ELj64EdEEv20rocsparse_direction_iiiNS_24const_host_device_scalarIT2_EEPKiS6_PKS3_S4_S6_S6_S8_S6_PiPS3_21rocsparse_index_base_SB_SB_b.uses_vcc, 1
	.set _ZN9rocsparseL39bsrgeam_wf_per_row_multipass_2_3_kernelILj256ELj3ELj64EdEEv20rocsparse_direction_iiiNS_24const_host_device_scalarIT2_EEPKiS6_PKS3_S4_S6_S6_S8_S6_PiPS3_21rocsparse_index_base_SB_SB_b.uses_flat_scratch, 0
	.set _ZN9rocsparseL39bsrgeam_wf_per_row_multipass_2_3_kernelILj256ELj3ELj64EdEEv20rocsparse_direction_iiiNS_24const_host_device_scalarIT2_EEPKiS6_PKS3_S4_S6_S6_S8_S6_PiPS3_21rocsparse_index_base_SB_SB_b.has_dyn_sized_stack, 0
	.set _ZN9rocsparseL39bsrgeam_wf_per_row_multipass_2_3_kernelILj256ELj3ELj64EdEEv20rocsparse_direction_iiiNS_24const_host_device_scalarIT2_EEPKiS6_PKS3_S4_S6_S6_S8_S6_PiPS3_21rocsparse_index_base_SB_SB_b.has_recursion, 0
	.set _ZN9rocsparseL39bsrgeam_wf_per_row_multipass_2_3_kernelILj256ELj3ELj64EdEEv20rocsparse_direction_iiiNS_24const_host_device_scalarIT2_EEPKiS6_PKS3_S4_S6_S6_S8_S6_PiPS3_21rocsparse_index_base_SB_SB_b.has_indirect_call, 0
	.section	.AMDGPU.csdata,"",@progbits
; Kernel info:
; codeLenInByte = 3540
; TotalNumSgprs: 43
; NumVgprs: 80
; ScratchSize: 0
; MemoryBound: 0
; FloatMode: 240
; IeeeMode: 1
; LDSByteSize: 18688 bytes/workgroup (compile time only)
; SGPRBlocks: 12
; VGPRBlocks: 19
; NumSGPRsForWavesPerEU: 102
; NumVGPRsForWavesPerEU: 80
; Occupancy: 3
; WaveLimiterHint : 1
; COMPUTE_PGM_RSRC2:SCRATCH_EN: 0
; COMPUTE_PGM_RSRC2:USER_SGPR: 6
; COMPUTE_PGM_RSRC2:TRAP_HANDLER: 0
; COMPUTE_PGM_RSRC2:TGID_X_EN: 1
; COMPUTE_PGM_RSRC2:TGID_Y_EN: 0
; COMPUTE_PGM_RSRC2:TGID_Z_EN: 0
; COMPUTE_PGM_RSRC2:TIDIG_COMP_CNT: 0
	.section	.text._ZN9rocsparseL35bsrgeam_wf_per_row_multipass_kernelILj64ELj4EdEEv20rocsparse_direction_iiiNS_24const_host_device_scalarIT1_EEPKiS6_PKS3_S4_S6_S6_S8_S6_PiPS3_21rocsparse_index_base_SB_SB_b,"axG",@progbits,_ZN9rocsparseL35bsrgeam_wf_per_row_multipass_kernelILj64ELj4EdEEv20rocsparse_direction_iiiNS_24const_host_device_scalarIT1_EEPKiS6_PKS3_S4_S6_S6_S8_S6_PiPS3_21rocsparse_index_base_SB_SB_b,comdat
	.globl	_ZN9rocsparseL35bsrgeam_wf_per_row_multipass_kernelILj64ELj4EdEEv20rocsparse_direction_iiiNS_24const_host_device_scalarIT1_EEPKiS6_PKS3_S4_S6_S6_S8_S6_PiPS3_21rocsparse_index_base_SB_SB_b ; -- Begin function _ZN9rocsparseL35bsrgeam_wf_per_row_multipass_kernelILj64ELj4EdEEv20rocsparse_direction_iiiNS_24const_host_device_scalarIT1_EEPKiS6_PKS3_S4_S6_S6_S8_S6_PiPS3_21rocsparse_index_base_SB_SB_b
	.p2align	8
	.type	_ZN9rocsparseL35bsrgeam_wf_per_row_multipass_kernelILj64ELj4EdEEv20rocsparse_direction_iiiNS_24const_host_device_scalarIT1_EEPKiS6_PKS3_S4_S6_S6_S8_S6_PiPS3_21rocsparse_index_base_SB_SB_b,@function
_ZN9rocsparseL35bsrgeam_wf_per_row_multipass_kernelILj64ELj4EdEEv20rocsparse_direction_iiiNS_24const_host_device_scalarIT1_EEPKiS6_PKS3_S4_S6_S6_S8_S6_PiPS3_21rocsparse_index_base_SB_SB_b: ; @_ZN9rocsparseL35bsrgeam_wf_per_row_multipass_kernelILj64ELj4EdEEv20rocsparse_direction_iiiNS_24const_host_device_scalarIT1_EEPKiS6_PKS3_S4_S6_S6_S8_S6_PiPS3_21rocsparse_index_base_SB_SB_b
; %bb.0:
	s_load_dwordx4 s[8:11], s[4:5], 0x68
	s_load_dwordx2 s[12:13], s[4:5], 0x10
	s_load_dwordx2 s[0:1], s[4:5], 0x30
	s_waitcnt lgkmcnt(0)
	s_bitcmp1_b32 s11, 0
	s_cselect_b64 s[14:15], -1, 0
	v_mov_b32_e32 v1, s12
	s_xor_b64 s[2:3], s[14:15], -1
	s_and_b64 vcc, exec, s[14:15]
	v_mov_b32_e32 v2, s13
	s_cbranch_vccnz .LBB12_2
; %bb.1:
	v_mov_b32_e32 v1, s12
	v_mov_b32_e32 v2, s13
	flat_load_dwordx2 v[1:2], v[1:2]
.LBB12_2:
	s_load_dwordx2 s[16:17], s[4:5], 0x18
	v_mov_b32_e32 v4, s1
	s_andn2_b64 vcc, exec, s[2:3]
	v_mov_b32_e32 v3, s0
	s_cbranch_vccnz .LBB12_4
; %bb.3:
	v_mov_b32_e32 v4, s1
	v_mov_b32_e32 v3, s0
	flat_load_dwordx2 v[3:4], v[3:4]
.LBB12_4:
	s_load_dwordx4 s[12:15], s[4:5], 0x0
	v_lshrrev_b32_e32 v12, 4, v0
	v_lshl_or_b32 v10, s6, 2, v12
	v_mov_b32_e32 v20, 0
	v_ashrrev_i32_e32 v11, 31, v10
	s_waitcnt lgkmcnt(0)
	v_cmp_le_i32_e32 vcc, s13, v10
	v_cmp_gt_i32_e64 s[0:1], s13, v10
	v_mov_b32_e32 v5, 0
	s_and_saveexec_b64 s[6:7], s[0:1]
	s_cbranch_execz .LBB12_6
; %bb.5:
	v_lshlrev_b64 v[5:6], 2, v[10:11]
	v_mov_b32_e32 v7, s17
	v_add_co_u32_e64 v5, s[2:3], s16, v5
	v_addc_co_u32_e64 v6, s[2:3], v7, v6, s[2:3]
	global_load_dword v5, v[5:6], off
	s_waitcnt vmcnt(0)
	v_subrev_u32_e32 v5, s8, v5
.LBB12_6:
	s_or_b64 exec, exec, s[6:7]
	s_load_dwordx2 s[6:7], s[4:5], 0x38
	s_and_saveexec_b64 s[18:19], s[0:1]
	s_cbranch_execz .LBB12_8
; %bb.7:
	v_lshlrev_b64 v[6:7], 2, v[10:11]
	v_mov_b32_e32 v8, s17
	v_add_co_u32_e64 v6, s[2:3], s16, v6
	v_addc_co_u32_e64 v7, s[2:3], v8, v7, s[2:3]
	global_load_dword v6, v[6:7], off offset:4
	s_waitcnt vmcnt(0)
	v_subrev_u32_e32 v20, s8, v6
.LBB12_8:
	s_or_b64 exec, exec, s[18:19]
	v_mov_b32_e32 v21, 0
	v_mov_b32_e32 v7, 0
	s_and_saveexec_b64 s[16:17], s[0:1]
	s_cbranch_execz .LBB12_10
; %bb.9:
	v_lshlrev_b64 v[6:7], 2, v[10:11]
	s_waitcnt lgkmcnt(0)
	v_mov_b32_e32 v8, s7
	v_add_co_u32_e64 v6, s[2:3], s6, v6
	v_addc_co_u32_e64 v7, s[2:3], v8, v7, s[2:3]
	global_load_dword v6, v[6:7], off
	s_waitcnt vmcnt(0)
	v_subrev_u32_e32 v7, s9, v6
.LBB12_10:
	s_or_b64 exec, exec, s[16:17]
	s_and_saveexec_b64 s[16:17], s[0:1]
	s_cbranch_execz .LBB12_12
; %bb.11:
	v_lshlrev_b64 v[8:9], 2, v[10:11]
	s_waitcnt lgkmcnt(0)
	v_mov_b32_e32 v6, s7
	v_add_co_u32_e64 v8, s[2:3], s6, v8
	v_addc_co_u32_e64 v9, s[2:3], v6, v9, s[2:3]
	global_load_dword v6, v[8:9], off offset:4
	s_waitcnt vmcnt(0)
	v_subrev_u32_e32 v21, s9, v6
.LBB12_12:
	s_or_b64 exec, exec, s[16:17]
	s_load_dwordx2 s[20:21], s[4:5], 0x20
	v_mov_b32_e32 v9, 0
	s_and_saveexec_b64 s[2:3], s[0:1]
	s_cbranch_execz .LBB12_14
; %bb.13:
	s_load_dwordx2 s[0:1], s[4:5], 0x50
	v_lshlrev_b64 v[8:9], 2, v[10:11]
	s_waitcnt lgkmcnt(0)
	v_mov_b32_e32 v6, s1
	v_add_co_u32_e64 v8, s[0:1], s0, v8
	v_addc_co_u32_e64 v9, s[0:1], v6, v9, s[0:1]
	global_load_dword v6, v[8:9], off
	s_waitcnt vmcnt(0)
	v_subrev_u32_e32 v9, s10, v6
.LBB12_14:
	s_or_b64 exec, exec, s[2:3]
	s_load_dwordx2 s[22:23], s[4:5], 0x40
	v_cmp_lt_i32_e64 s[0:1], v5, v20
	v_mov_b32_e32 v6, s14
	s_and_saveexec_b64 s[2:3], s[0:1]
	s_cbranch_execz .LBB12_16
; %bb.15:
	v_ashrrev_i32_e32 v6, 31, v5
	v_lshlrev_b64 v[10:11], 2, v[5:6]
	s_waitcnt lgkmcnt(0)
	v_mov_b32_e32 v6, s21
	v_add_co_u32_e64 v10, s[0:1], s20, v10
	v_addc_co_u32_e64 v11, s[0:1], v6, v11, s[0:1]
	global_load_dword v6, v[10:11], off
	s_waitcnt vmcnt(0)
	v_subrev_u32_e32 v6, s8, v6
.LBB12_16:
	s_or_b64 exec, exec, s[2:3]
	v_cmp_lt_i32_e64 s[0:1], v7, v21
	v_mov_b32_e32 v8, s14
	s_and_saveexec_b64 s[2:3], s[0:1]
	s_cbranch_execz .LBB12_18
; %bb.17:
	v_ashrrev_i32_e32 v8, 31, v7
	v_lshlrev_b64 v[10:11], 2, v[7:8]
	s_waitcnt lgkmcnt(0)
	v_mov_b32_e32 v8, s23
	v_add_co_u32_e64 v10, s[0:1], s22, v10
	v_addc_co_u32_e64 v11, s[0:1], v8, v11, s[0:1]
	global_load_dword v8, v[10:11], off
	s_waitcnt vmcnt(0)
	v_subrev_u32_e32 v8, s9, v8
.LBB12_18:
	s_or_b64 exec, exec, s[2:3]
	v_cndmask_b32_e64 v11, 0, 1, vcc
	v_lshlrev_b32_e32 v10, 2, v12
	ds_write_b32 v10, v11 offset:512
	v_mov_b32_e32 v11, 0
	s_waitcnt lgkmcnt(0)
	; wave barrier
	ds_read_b32 v13, v11 offset:512
	s_waitcnt lgkmcnt(0)
	v_cmp_lt_u32_e32 vcc, 3, v13
	s_cbranch_vccnz .LBB12_58
; %bb.19:
	v_or_b32_e32 v22, 0x200, v10
	v_and_b32_e32 v13, 3, v0
	v_bfe_u32 v14, v0, 2, 2
	v_min_i32_e32 v10, v8, v6
	v_mov_b32_e32 v6, 0x210
	s_load_dwordx4 s[16:19], s[4:5], 0x58
	s_load_dwordx2 s[24:25], s[4:5], 0x28
	s_load_dwordx2 s[26:27], s[4:5], 0x48
	v_lshl_or_b32 v23, v12, 2, v6
	v_max_i32_e32 v6, v14, v13
	v_cmp_gt_i32_e64 s[0:1], s15, v6
	v_and_b32_e32 v6, 48, v0
	s_cmp_lg_u32 s12, 0
	v_lshlrev_b32_e32 v6, 3, v6
	v_lshlrev_b32_e32 v8, 5, v14
	;; [unrolled: 1-line block ×3, first 2 shown]
	s_cselect_b64 s[28:29], -1, 0
	s_cmp_eq_u32 s12, 0
	v_or3_b32 v25, v6, v8, v12
	v_lshlrev_b32_e32 v8, 5, v13
	v_lshlrev_b32_e32 v12, 3, v14
	v_or3_b32 v26, v6, v8, v12
	v_mov_b32_e32 v6, 0x200
	s_cselect_b64 vcc, -1, 0
	v_lshlrev_b32_e32 v24, 3, v0
	v_cmp_gt_u32_e64 s[2:3], 2, v0
	v_lshl_or_b32 v27, v0, 2, v6
	v_cmp_eq_u32_e64 s[4:5], 0, v0
	v_cndmask_b32_e32 v0, v14, v13, vcc
	v_cndmask_b32_e32 v15, v13, v14, vcc
	;; [unrolled: 1-line block ×3, first 2 shown]
	s_mul_i32 s11, s15, s15
	v_mov_b32_e32 v12, v11
	v_mov_b32_e32 v29, 1
	s_branch .LBB12_21
.LBB12_20:                              ;   in Loop: Header=BB12_21 Depth=1
	s_or_b64 exec, exec, s[6:7]
	s_waitcnt lgkmcnt(0)
	; wave barrier
	ds_read_b32 v8, v11 offset:512
	v_add_u32_e32 v9, 1, v9
	v_mov_b32_e32 v10, v6
	s_waitcnt lgkmcnt(0)
	v_cmp_gt_u32_e32 vcc, 4, v8
	s_cbranch_vccz .LBB12_58
.LBB12_21:                              ; =>This Loop Header: Depth=1
                                        ;     Child Loop BB12_24 Depth 2
                                        ;     Child Loop BB12_39 Depth 2
	v_cmp_lt_i32_e32 vcc, v5, v20
	v_mov_b32_e32 v6, s14
	ds_write_b32 v23, v11
	ds_write_b64 v24, v[11:12]
	s_waitcnt lgkmcnt(0)
	; wave barrier
	s_and_saveexec_b64 s[12:13], vcc
	s_cbranch_execz .LBB12_36
; %bb.22:                               ;   in Loop: Header=BB12_21 Depth=1
	v_mul_lo_u32 v6, s15, v5
	s_mov_b64 s[30:31], 0
	v_add_u32_e32 v8, v13, v6
	v_add_u32_e32 v6, v14, v6
	v_mad_u64_u32 v[16:17], s[6:7], s15, v8, v[14:15]
	v_mad_u64_u32 v[17:18], s[6:7], s15, v6, v[13:14]
	v_ashrrev_i32_e32 v6, 31, v5
	v_lshlrev_b64 v[18:19], 2, v[5:6]
	v_mov_b32_e32 v6, s21
	v_add_co_u32_e32 v18, vcc, s20, v18
	v_addc_co_u32_e32 v19, vcc, v6, v19, vcc
	v_mov_b32_e32 v8, 0
	v_mov_b32_e32 v6, s14
	s_branch .LBB12_24
.LBB12_23:                              ;   in Loop: Header=BB12_24 Depth=2
	s_or_b64 exec, exec, s[36:37]
	s_and_b64 s[6:7], exec, s[34:35]
	v_mov_b32_e32 v31, v5
	s_or_b64 s[30:31], s[6:7], s[30:31]
	v_mov_b32_e32 v5, v30
	s_andn2_b64 exec, exec, s[30:31]
	s_cbranch_execz .LBB12_35
.LBB12_24:                              ;   Parent Loop BB12_21 Depth=1
                                        ; =>  This Inner Loop Header: Depth=2
	global_load_dword v30, v[18:19], off
	s_waitcnt vmcnt(0)
	v_subrev_u32_e32 v30, s8, v30
	v_cmp_le_i32_e64 s[6:7], v30, v10
	s_and_saveexec_b64 s[34:35], s[6:7]
	s_xor_b64 s[34:35], exec, s[34:35]
	s_cbranch_execz .LBB12_31
; %bb.25:                               ;   in Loop: Header=BB12_24 Depth=2
	ds_write_b32 v23, v29
	s_and_saveexec_b64 s[36:37], s[0:1]
	s_cbranch_execz .LBB12_30
; %bb.26:                               ;   in Loop: Header=BB12_24 Depth=2
	s_mov_b64 s[38:39], -1
	s_and_b64 vcc, exec, s[28:29]
	s_cbranch_vccz .LBB12_28
; %bb.27:                               ;   in Loop: Header=BB12_24 Depth=2
	v_add_u32_e32 v30, v17, v8
	v_ashrrev_i32_e32 v31, 31, v30
	v_lshlrev_b64 v[30:31], 3, v[30:31]
	v_mov_b32_e32 v32, s25
	v_add_co_u32_e32 v30, vcc, s24, v30
	v_addc_co_u32_e32 v31, vcc, v32, v31, vcc
	global_load_dwordx2 v[30:31], v[30:31], off
	s_mov_b64 s[38:39], 0
	s_waitcnt vmcnt(0)
	v_mul_f64 v[30:31], v[1:2], v[30:31]
	ds_write_b64 v25, v[30:31]
.LBB12_28:                              ;   in Loop: Header=BB12_24 Depth=2
	s_andn2_b64 vcc, exec, s[38:39]
	s_cbranch_vccnz .LBB12_30
; %bb.29:                               ;   in Loop: Header=BB12_24 Depth=2
	v_add_u32_e32 v30, v16, v8
	v_ashrrev_i32_e32 v31, 31, v30
	v_lshlrev_b64 v[30:31], 3, v[30:31]
	v_mov_b32_e32 v32, s25
	v_add_co_u32_e32 v30, vcc, s24, v30
	v_addc_co_u32_e32 v31, vcc, v32, v31, vcc
	global_load_dwordx2 v[30:31], v[30:31], off
	s_waitcnt vmcnt(0)
	v_mul_f64 v[30:31], v[1:2], v[30:31]
	ds_write_b64 v26, v[30:31]
.LBB12_30:                              ;   in Loop: Header=BB12_24 Depth=2
	s_or_b64 exec, exec, s[36:37]
                                        ; implicit-def: $vgpr30
	s_andn2_saveexec_b64 s[34:35], s[34:35]
	s_branch .LBB12_32
.LBB12_31:                              ;   in Loop: Header=BB12_24 Depth=2
	s_andn2_saveexec_b64 s[34:35], s[34:35]
.LBB12_32:                              ;   in Loop: Header=BB12_24 Depth=2
	v_min_i32_e32 v6, v30, v6
; %bb.33:                               ;   in Loop: Header=BB12_24 Depth=2
	s_or_b64 exec, exec, s[34:35]
	s_mov_b64 s[34:35], -1
                                        ; implicit-def: $vgpr30
	s_and_saveexec_b64 s[36:37], s[6:7]
	s_cbranch_execz .LBB12_23
; %bb.34:                               ;   in Loop: Header=BB12_24 Depth=2
	v_add_co_u32_e32 v18, vcc, 4, v18
	v_add_u32_e32 v30, 1, v5
	v_addc_co_u32_e32 v19, vcc, 0, v19, vcc
	v_cmp_ge_i32_e32 vcc, v30, v20
	v_add_u32_e32 v8, s11, v8
	s_orn2_b64 s[34:35], vcc, exec
	v_mov_b32_e32 v5, v20
	s_branch .LBB12_23
.LBB12_35:                              ;   in Loop: Header=BB12_21 Depth=1
	s_or_b64 exec, exec, s[30:31]
	v_mov_b32_e32 v5, v31
.LBB12_36:                              ;   in Loop: Header=BB12_21 Depth=1
	s_or_b64 exec, exec, s[12:13]
	v_cmp_lt_i32_e32 vcc, v7, v21
	s_waitcnt lgkmcnt(0)
	; wave barrier
	s_and_saveexec_b64 s[12:13], vcc
	s_cbranch_execz .LBB12_51
; %bb.37:                               ;   in Loop: Header=BB12_21 Depth=1
	v_mul_lo_u32 v8, s15, v7
	s_mov_b64 s[30:31], 0
	v_add_u32_e32 v16, v13, v8
	v_add_u32_e32 v8, v14, v8
	v_mad_u64_u32 v[16:17], s[6:7], s15, v16, v[14:15]
	v_mad_u64_u32 v[17:18], s[6:7], s15, v8, v[13:14]
	v_ashrrev_i32_e32 v8, 31, v7
	v_lshlrev_b64 v[18:19], 2, v[7:8]
	v_mov_b32_e32 v8, s23
	v_add_co_u32_e32 v18, vcc, s22, v18
	v_addc_co_u32_e32 v19, vcc, v8, v19, vcc
	v_mov_b32_e32 v8, 0
	s_branch .LBB12_39
.LBB12_38:                              ;   in Loop: Header=BB12_39 Depth=2
	s_or_b64 exec, exec, s[36:37]
	s_and_b64 s[6:7], exec, s[34:35]
	v_mov_b32_e32 v31, v7
	s_or_b64 s[30:31], s[6:7], s[30:31]
	v_mov_b32_e32 v7, v30
	s_andn2_b64 exec, exec, s[30:31]
	s_cbranch_execz .LBB12_50
.LBB12_39:                              ;   Parent Loop BB12_21 Depth=1
                                        ; =>  This Inner Loop Header: Depth=2
	global_load_dword v30, v[18:19], off
	s_waitcnt vmcnt(0)
	v_subrev_u32_e32 v30, s9, v30
	v_cmp_le_i32_e64 s[6:7], v30, v10
	s_and_saveexec_b64 s[34:35], s[6:7]
	s_xor_b64 s[34:35], exec, s[34:35]
	s_cbranch_execz .LBB12_46
; %bb.40:                               ;   in Loop: Header=BB12_39 Depth=2
	ds_write_b32 v23, v29
	s_and_saveexec_b64 s[36:37], s[0:1]
	s_cbranch_execz .LBB12_45
; %bb.41:                               ;   in Loop: Header=BB12_39 Depth=2
	s_mov_b64 s[38:39], -1
	s_and_b64 vcc, exec, s[28:29]
	s_cbranch_vccz .LBB12_43
; %bb.42:                               ;   in Loop: Header=BB12_39 Depth=2
	v_add_u32_e32 v30, v17, v8
	v_ashrrev_i32_e32 v31, 31, v30
	v_lshlrev_b64 v[30:31], 3, v[30:31]
	v_mov_b32_e32 v32, s27
	v_add_co_u32_e32 v30, vcc, s26, v30
	v_addc_co_u32_e32 v31, vcc, v32, v31, vcc
	global_load_dwordx2 v[30:31], v[30:31], off
	ds_read_b64 v[32:33], v25
	s_mov_b64 s[38:39], 0
	s_waitcnt vmcnt(0) lgkmcnt(0)
	v_fma_f64 v[30:31], v[3:4], v[30:31], v[32:33]
	ds_write_b64 v25, v[30:31]
.LBB12_43:                              ;   in Loop: Header=BB12_39 Depth=2
	s_andn2_b64 vcc, exec, s[38:39]
	s_cbranch_vccnz .LBB12_45
; %bb.44:                               ;   in Loop: Header=BB12_39 Depth=2
	v_add_u32_e32 v30, v16, v8
	v_ashrrev_i32_e32 v31, 31, v30
	v_lshlrev_b64 v[30:31], 3, v[30:31]
	v_mov_b32_e32 v32, s27
	v_add_co_u32_e32 v30, vcc, s26, v30
	v_addc_co_u32_e32 v31, vcc, v32, v31, vcc
	global_load_dwordx2 v[30:31], v[30:31], off
	ds_read_b64 v[32:33], v26
	s_waitcnt vmcnt(0) lgkmcnt(0)
	v_fma_f64 v[30:31], v[3:4], v[30:31], v[32:33]
	ds_write_b64 v26, v[30:31]
.LBB12_45:                              ;   in Loop: Header=BB12_39 Depth=2
	s_or_b64 exec, exec, s[36:37]
                                        ; implicit-def: $vgpr30
	s_andn2_saveexec_b64 s[34:35], s[34:35]
	s_branch .LBB12_47
.LBB12_46:                              ;   in Loop: Header=BB12_39 Depth=2
	s_andn2_saveexec_b64 s[34:35], s[34:35]
.LBB12_47:                              ;   in Loop: Header=BB12_39 Depth=2
	v_min_i32_e32 v6, v30, v6
; %bb.48:                               ;   in Loop: Header=BB12_39 Depth=2
	s_or_b64 exec, exec, s[34:35]
	s_mov_b64 s[34:35], -1
                                        ; implicit-def: $vgpr30
	s_and_saveexec_b64 s[36:37], s[6:7]
	s_cbranch_execz .LBB12_38
; %bb.49:                               ;   in Loop: Header=BB12_39 Depth=2
	v_add_co_u32_e32 v18, vcc, 4, v18
	v_add_u32_e32 v30, 1, v7
	v_addc_co_u32_e32 v19, vcc, 0, v19, vcc
	v_cmp_ge_i32_e32 vcc, v30, v21
	v_add_u32_e32 v8, s11, v8
	s_orn2_b64 s[34:35], vcc, exec
	v_mov_b32_e32 v7, v21
	s_branch .LBB12_38
.LBB12_50:                              ;   in Loop: Header=BB12_21 Depth=1
	s_or_b64 exec, exec, s[30:31]
	v_mov_b32_e32 v7, v31
.LBB12_51:                              ;   in Loop: Header=BB12_21 Depth=1
	s_or_b64 exec, exec, s[12:13]
	s_waitcnt lgkmcnt(0)
	; wave barrier
	ds_read_b32 v8, v23
	s_waitcnt lgkmcnt(0)
	v_cmp_ne_u32_e32 vcc, 0, v8
	s_and_saveexec_b64 s[6:7], vcc
	s_cbranch_execz .LBB12_54
; %bb.52:                               ;   in Loop: Header=BB12_21 Depth=1
	v_add_u32_e32 v8, s10, v10
	v_ashrrev_i32_e32 v10, 31, v9
	v_lshlrev_b64 v[16:17], 2, v[9:10]
	v_mov_b32_e32 v10, s17
	v_add_co_u32_e32 v16, vcc, s16, v16
	v_addc_co_u32_e32 v17, vcc, v10, v17, vcc
	global_store_dword v[16:17], v8, off
	s_and_b64 exec, exec, s[0:1]
	s_cbranch_execz .LBB12_54
; %bb.53:                               ;   in Loop: Header=BB12_21 Depth=1
	s_waitcnt vmcnt(0)
	v_mad_u64_u32 v[16:17], s[12:13], v9, s15, v[0:1]
	ds_read_b64 v[18:19], v28
	v_mov_b32_e32 v8, s19
	v_mad_u64_u32 v[16:17], s[12:13], v16, s15, v[15:16]
	v_ashrrev_i32_e32 v17, 31, v16
	v_lshlrev_b64 v[16:17], 3, v[16:17]
	v_add_co_u32_e32 v16, vcc, s18, v16
	v_addc_co_u32_e32 v17, vcc, v8, v17, vcc
	s_waitcnt lgkmcnt(0)
	global_store_dwordx2 v[16:17], v[18:19], off
.LBB12_54:                              ;   in Loop: Header=BB12_21 Depth=1
	s_or_b64 exec, exec, s[6:7]
	v_cmp_le_i32_e32 vcc, s14, v6
	v_cndmask_b32_e64 v8, 0, 1, vcc
	; wave barrier
	; wave barrier
	ds_write_b32 v22, v8
	s_waitcnt lgkmcnt(0)
	; wave barrier
	s_and_saveexec_b64 s[6:7], s[2:3]
	s_cbranch_execz .LBB12_56
; %bb.55:                               ;   in Loop: Header=BB12_21 Depth=1
	ds_read2_b32 v[16:17], v27 offset1:2
	s_waitcnt lgkmcnt(0)
	v_add_u32_e32 v8, v17, v16
	ds_write_b32 v27, v8
.LBB12_56:                              ;   in Loop: Header=BB12_21 Depth=1
	s_or_b64 exec, exec, s[6:7]
	s_waitcnt lgkmcnt(0)
	; wave barrier
	s_and_saveexec_b64 s[6:7], s[4:5]
	s_cbranch_execz .LBB12_20
; %bb.57:                               ;   in Loop: Header=BB12_21 Depth=1
	ds_read_b64 v[16:17], v11 offset:512
	s_waitcnt lgkmcnt(0)
	v_add_u32_e32 v8, v17, v16
	ds_write_b32 v11, v8 offset:512
	s_branch .LBB12_20
.LBB12_58:
	s_endpgm
	.section	.rodata,"a",@progbits
	.p2align	6, 0x0
	.amdhsa_kernel _ZN9rocsparseL35bsrgeam_wf_per_row_multipass_kernelILj64ELj4EdEEv20rocsparse_direction_iiiNS_24const_host_device_scalarIT1_EEPKiS6_PKS3_S4_S6_S6_S8_S6_PiPS3_21rocsparse_index_base_SB_SB_b
		.amdhsa_group_segment_fixed_size 544
		.amdhsa_private_segment_fixed_size 0
		.amdhsa_kernarg_size 120
		.amdhsa_user_sgpr_count 6
		.amdhsa_user_sgpr_private_segment_buffer 1
		.amdhsa_user_sgpr_dispatch_ptr 0
		.amdhsa_user_sgpr_queue_ptr 0
		.amdhsa_user_sgpr_kernarg_segment_ptr 1
		.amdhsa_user_sgpr_dispatch_id 0
		.amdhsa_user_sgpr_flat_scratch_init 0
		.amdhsa_user_sgpr_private_segment_size 0
		.amdhsa_uses_dynamic_stack 0
		.amdhsa_system_sgpr_private_segment_wavefront_offset 0
		.amdhsa_system_sgpr_workgroup_id_x 1
		.amdhsa_system_sgpr_workgroup_id_y 0
		.amdhsa_system_sgpr_workgroup_id_z 0
		.amdhsa_system_sgpr_workgroup_info 0
		.amdhsa_system_vgpr_workitem_id 0
		.amdhsa_next_free_vgpr 34
		.amdhsa_next_free_sgpr 40
		.amdhsa_reserve_vcc 1
		.amdhsa_reserve_flat_scratch 0
		.amdhsa_float_round_mode_32 0
		.amdhsa_float_round_mode_16_64 0
		.amdhsa_float_denorm_mode_32 3
		.amdhsa_float_denorm_mode_16_64 3
		.amdhsa_dx10_clamp 1
		.amdhsa_ieee_mode 1
		.amdhsa_fp16_overflow 0
		.amdhsa_exception_fp_ieee_invalid_op 0
		.amdhsa_exception_fp_denorm_src 0
		.amdhsa_exception_fp_ieee_div_zero 0
		.amdhsa_exception_fp_ieee_overflow 0
		.amdhsa_exception_fp_ieee_underflow 0
		.amdhsa_exception_fp_ieee_inexact 0
		.amdhsa_exception_int_div_zero 0
	.end_amdhsa_kernel
	.section	.text._ZN9rocsparseL35bsrgeam_wf_per_row_multipass_kernelILj64ELj4EdEEv20rocsparse_direction_iiiNS_24const_host_device_scalarIT1_EEPKiS6_PKS3_S4_S6_S6_S8_S6_PiPS3_21rocsparse_index_base_SB_SB_b,"axG",@progbits,_ZN9rocsparseL35bsrgeam_wf_per_row_multipass_kernelILj64ELj4EdEEv20rocsparse_direction_iiiNS_24const_host_device_scalarIT1_EEPKiS6_PKS3_S4_S6_S6_S8_S6_PiPS3_21rocsparse_index_base_SB_SB_b,comdat
.Lfunc_end12:
	.size	_ZN9rocsparseL35bsrgeam_wf_per_row_multipass_kernelILj64ELj4EdEEv20rocsparse_direction_iiiNS_24const_host_device_scalarIT1_EEPKiS6_PKS3_S4_S6_S6_S8_S6_PiPS3_21rocsparse_index_base_SB_SB_b, .Lfunc_end12-_ZN9rocsparseL35bsrgeam_wf_per_row_multipass_kernelILj64ELj4EdEEv20rocsparse_direction_iiiNS_24const_host_device_scalarIT1_EEPKiS6_PKS3_S4_S6_S6_S8_S6_PiPS3_21rocsparse_index_base_SB_SB_b
                                        ; -- End function
	.set _ZN9rocsparseL35bsrgeam_wf_per_row_multipass_kernelILj64ELj4EdEEv20rocsparse_direction_iiiNS_24const_host_device_scalarIT1_EEPKiS6_PKS3_S4_S6_S6_S8_S6_PiPS3_21rocsparse_index_base_SB_SB_b.num_vgpr, 34
	.set _ZN9rocsparseL35bsrgeam_wf_per_row_multipass_kernelILj64ELj4EdEEv20rocsparse_direction_iiiNS_24const_host_device_scalarIT1_EEPKiS6_PKS3_S4_S6_S6_S8_S6_PiPS3_21rocsparse_index_base_SB_SB_b.num_agpr, 0
	.set _ZN9rocsparseL35bsrgeam_wf_per_row_multipass_kernelILj64ELj4EdEEv20rocsparse_direction_iiiNS_24const_host_device_scalarIT1_EEPKiS6_PKS3_S4_S6_S6_S8_S6_PiPS3_21rocsparse_index_base_SB_SB_b.numbered_sgpr, 40
	.set _ZN9rocsparseL35bsrgeam_wf_per_row_multipass_kernelILj64ELj4EdEEv20rocsparse_direction_iiiNS_24const_host_device_scalarIT1_EEPKiS6_PKS3_S4_S6_S6_S8_S6_PiPS3_21rocsparse_index_base_SB_SB_b.num_named_barrier, 0
	.set _ZN9rocsparseL35bsrgeam_wf_per_row_multipass_kernelILj64ELj4EdEEv20rocsparse_direction_iiiNS_24const_host_device_scalarIT1_EEPKiS6_PKS3_S4_S6_S6_S8_S6_PiPS3_21rocsparse_index_base_SB_SB_b.private_seg_size, 0
	.set _ZN9rocsparseL35bsrgeam_wf_per_row_multipass_kernelILj64ELj4EdEEv20rocsparse_direction_iiiNS_24const_host_device_scalarIT1_EEPKiS6_PKS3_S4_S6_S6_S8_S6_PiPS3_21rocsparse_index_base_SB_SB_b.uses_vcc, 1
	.set _ZN9rocsparseL35bsrgeam_wf_per_row_multipass_kernelILj64ELj4EdEEv20rocsparse_direction_iiiNS_24const_host_device_scalarIT1_EEPKiS6_PKS3_S4_S6_S6_S8_S6_PiPS3_21rocsparse_index_base_SB_SB_b.uses_flat_scratch, 0
	.set _ZN9rocsparseL35bsrgeam_wf_per_row_multipass_kernelILj64ELj4EdEEv20rocsparse_direction_iiiNS_24const_host_device_scalarIT1_EEPKiS6_PKS3_S4_S6_S6_S8_S6_PiPS3_21rocsparse_index_base_SB_SB_b.has_dyn_sized_stack, 0
	.set _ZN9rocsparseL35bsrgeam_wf_per_row_multipass_kernelILj64ELj4EdEEv20rocsparse_direction_iiiNS_24const_host_device_scalarIT1_EEPKiS6_PKS3_S4_S6_S6_S8_S6_PiPS3_21rocsparse_index_base_SB_SB_b.has_recursion, 0
	.set _ZN9rocsparseL35bsrgeam_wf_per_row_multipass_kernelILj64ELj4EdEEv20rocsparse_direction_iiiNS_24const_host_device_scalarIT1_EEPKiS6_PKS3_S4_S6_S6_S8_S6_PiPS3_21rocsparse_index_base_SB_SB_b.has_indirect_call, 0
	.section	.AMDGPU.csdata,"",@progbits
; Kernel info:
; codeLenInByte = 1972
; TotalNumSgprs: 44
; NumVgprs: 34
; ScratchSize: 0
; MemoryBound: 0
; FloatMode: 240
; IeeeMode: 1
; LDSByteSize: 544 bytes/workgroup (compile time only)
; SGPRBlocks: 5
; VGPRBlocks: 8
; NumSGPRsForWavesPerEU: 44
; NumVGPRsForWavesPerEU: 34
; Occupancy: 7
; WaveLimiterHint : 1
; COMPUTE_PGM_RSRC2:SCRATCH_EN: 0
; COMPUTE_PGM_RSRC2:USER_SGPR: 6
; COMPUTE_PGM_RSRC2:TRAP_HANDLER: 0
; COMPUTE_PGM_RSRC2:TGID_X_EN: 1
; COMPUTE_PGM_RSRC2:TGID_Y_EN: 0
; COMPUTE_PGM_RSRC2:TGID_Z_EN: 0
; COMPUTE_PGM_RSRC2:TIDIG_COMP_CNT: 0
	.section	.text._ZN9rocsparseL35bsrgeam_wf_per_row_multipass_kernelILj64ELj8EdEEv20rocsparse_direction_iiiNS_24const_host_device_scalarIT1_EEPKiS6_PKS3_S4_S6_S6_S8_S6_PiPS3_21rocsparse_index_base_SB_SB_b,"axG",@progbits,_ZN9rocsparseL35bsrgeam_wf_per_row_multipass_kernelILj64ELj8EdEEv20rocsparse_direction_iiiNS_24const_host_device_scalarIT1_EEPKiS6_PKS3_S4_S6_S6_S8_S6_PiPS3_21rocsparse_index_base_SB_SB_b,comdat
	.globl	_ZN9rocsparseL35bsrgeam_wf_per_row_multipass_kernelILj64ELj8EdEEv20rocsparse_direction_iiiNS_24const_host_device_scalarIT1_EEPKiS6_PKS3_S4_S6_S6_S8_S6_PiPS3_21rocsparse_index_base_SB_SB_b ; -- Begin function _ZN9rocsparseL35bsrgeam_wf_per_row_multipass_kernelILj64ELj8EdEEv20rocsparse_direction_iiiNS_24const_host_device_scalarIT1_EEPKiS6_PKS3_S4_S6_S6_S8_S6_PiPS3_21rocsparse_index_base_SB_SB_b
	.p2align	8
	.type	_ZN9rocsparseL35bsrgeam_wf_per_row_multipass_kernelILj64ELj8EdEEv20rocsparse_direction_iiiNS_24const_host_device_scalarIT1_EEPKiS6_PKS3_S4_S6_S6_S8_S6_PiPS3_21rocsparse_index_base_SB_SB_b,@function
_ZN9rocsparseL35bsrgeam_wf_per_row_multipass_kernelILj64ELj8EdEEv20rocsparse_direction_iiiNS_24const_host_device_scalarIT1_EEPKiS6_PKS3_S4_S6_S6_S8_S6_PiPS3_21rocsparse_index_base_SB_SB_b: ; @_ZN9rocsparseL35bsrgeam_wf_per_row_multipass_kernelILj64ELj8EdEEv20rocsparse_direction_iiiNS_24const_host_device_scalarIT1_EEPKiS6_PKS3_S4_S6_S6_S8_S6_PiPS3_21rocsparse_index_base_SB_SB_b
; %bb.0:
	s_load_dwordx4 s[8:11], s[4:5], 0x68
	s_load_dwordx2 s[12:13], s[4:5], 0x10
	s_load_dwordx2 s[0:1], s[4:5], 0x30
	s_waitcnt lgkmcnt(0)
	s_bitcmp1_b32 s11, 0
	s_cselect_b64 s[14:15], -1, 0
	v_mov_b32_e32 v1, s12
	s_xor_b64 s[2:3], s[14:15], -1
	s_and_b64 vcc, exec, s[14:15]
	v_mov_b32_e32 v2, s13
	s_cbranch_vccnz .LBB13_2
; %bb.1:
	v_mov_b32_e32 v1, s12
	v_mov_b32_e32 v2, s13
	flat_load_dwordx2 v[1:2], v[1:2]
.LBB13_2:
	s_load_dwordx2 s[18:19], s[4:5], 0x18
	v_mov_b32_e32 v4, s1
	s_andn2_b64 vcc, exec, s[2:3]
	v_mov_b32_e32 v3, s0
	s_cbranch_vccnz .LBB13_4
; %bb.3:
	v_mov_b32_e32 v4, s1
	v_mov_b32_e32 v3, s0
	flat_load_dwordx2 v[3:4], v[3:4]
.LBB13_4:
	s_load_dwordx4 s[12:15], s[4:5], 0x0
	v_mov_b32_e32 v20, 0
	v_mov_b32_e32 v8, s6
	;; [unrolled: 1-line block ×3, first 2 shown]
	s_waitcnt lgkmcnt(0)
	s_cmp_ge_i32 s6, s13
	s_cselect_b64 s[0:1], -1, 0
	s_cmp_lt_i32 s6, s13
	s_cselect_b64 s[2:3], -1, 0
	s_and_saveexec_b64 s[16:17], s[2:3]
	s_cbranch_execz .LBB13_6
; %bb.5:
	v_ashrrev_i32_e64 v9, 31, s6
	v_lshlrev_b64 v[5:6], 2, v[8:9]
	v_mov_b32_e32 v7, s19
	v_add_co_u32_e32 v5, vcc, s18, v5
	v_addc_co_u32_e32 v6, vcc, v7, v6, vcc
	global_load_dword v5, v[5:6], off
	s_waitcnt vmcnt(0)
	v_subrev_u32_e32 v5, s8, v5
.LBB13_6:
	s_or_b64 exec, exec, s[16:17]
	s_load_dwordx2 s[16:17], s[4:5], 0x38
	s_and_saveexec_b64 s[20:21], s[2:3]
	s_cbranch_execz .LBB13_8
; %bb.7:
	v_ashrrev_i32_e64 v9, 31, s6
	v_lshlrev_b64 v[6:7], 2, v[8:9]
	v_mov_b32_e32 v9, s19
	v_add_co_u32_e32 v6, vcc, s18, v6
	v_addc_co_u32_e32 v7, vcc, v9, v7, vcc
	global_load_dword v6, v[6:7], off offset:4
	s_waitcnt vmcnt(0)
	v_subrev_u32_e32 v20, s8, v6
.LBB13_8:
	s_or_b64 exec, exec, s[20:21]
	v_mov_b32_e32 v21, 0
	v_mov_b32_e32 v7, 0
	s_and_saveexec_b64 s[18:19], s[2:3]
	s_cbranch_execz .LBB13_10
; %bb.9:
	v_ashrrev_i32_e64 v9, 31, s6
	v_lshlrev_b64 v[6:7], 2, v[8:9]
	s_waitcnt lgkmcnt(0)
	v_mov_b32_e32 v9, s17
	v_add_co_u32_e32 v6, vcc, s16, v6
	v_addc_co_u32_e32 v7, vcc, v9, v7, vcc
	global_load_dword v6, v[6:7], off
	s_waitcnt vmcnt(0)
	v_subrev_u32_e32 v7, s9, v6
.LBB13_10:
	s_or_b64 exec, exec, s[18:19]
	s_and_saveexec_b64 s[18:19], s[2:3]
	s_cbranch_execz .LBB13_12
; %bb.11:
	v_ashrrev_i32_e64 v9, 31, s6
	v_lshlrev_b64 v[9:10], 2, v[8:9]
	s_waitcnt lgkmcnt(0)
	v_mov_b32_e32 v6, s17
	v_add_co_u32_e32 v9, vcc, s16, v9
	v_addc_co_u32_e32 v10, vcc, v6, v10, vcc
	global_load_dword v6, v[9:10], off offset:4
	s_waitcnt vmcnt(0)
	v_subrev_u32_e32 v21, s9, v6
.LBB13_12:
	s_or_b64 exec, exec, s[18:19]
	s_load_dwordx2 s[20:21], s[4:5], 0x20
	v_mov_b32_e32 v9, 0
	s_waitcnt lgkmcnt(0)
	s_and_saveexec_b64 s[16:17], s[2:3]
	s_cbranch_execz .LBB13_14
; %bb.13:
	s_load_dwordx2 s[2:3], s[4:5], 0x50
	v_ashrrev_i32_e64 v9, 31, s6
	v_lshlrev_b64 v[8:9], 2, v[8:9]
	s_waitcnt lgkmcnt(0)
	v_mov_b32_e32 v6, s3
	v_add_co_u32_e32 v8, vcc, s2, v8
	v_addc_co_u32_e32 v9, vcc, v6, v9, vcc
	global_load_dword v6, v[8:9], off
	s_waitcnt vmcnt(0)
	v_subrev_u32_e32 v9, s10, v6
.LBB13_14:
	s_or_b64 exec, exec, s[16:17]
	s_load_dwordx2 s[6:7], s[4:5], 0x40
	v_cmp_lt_i32_e32 vcc, v5, v20
	v_mov_b32_e32 v6, s14
	s_and_saveexec_b64 s[2:3], vcc
	s_cbranch_execz .LBB13_16
; %bb.15:
	v_ashrrev_i32_e32 v6, 31, v5
	v_lshlrev_b64 v[10:11], 2, v[5:6]
	v_mov_b32_e32 v6, s21
	v_add_co_u32_e32 v10, vcc, s20, v10
	v_addc_co_u32_e32 v11, vcc, v6, v11, vcc
	global_load_dword v6, v[10:11], off
	s_waitcnt vmcnt(0)
	v_subrev_u32_e32 v6, s8, v6
.LBB13_16:
	s_or_b64 exec, exec, s[2:3]
	v_cmp_lt_i32_e32 vcc, v7, v21
	v_mov_b32_e32 v8, s14
	s_and_saveexec_b64 s[2:3], vcc
	s_cbranch_execz .LBB13_18
; %bb.17:
	v_ashrrev_i32_e32 v8, 31, v7
	v_lshlrev_b64 v[10:11], 2, v[7:8]
	s_waitcnt lgkmcnt(0)
	v_mov_b32_e32 v8, s7
	v_add_co_u32_e32 v10, vcc, s6, v10
	v_addc_co_u32_e32 v11, vcc, v8, v11, vcc
	global_load_dword v8, v[10:11], off
	s_waitcnt vmcnt(0)
	v_subrev_u32_e32 v8, s9, v8
.LBB13_18:
	s_or_b64 exec, exec, s[2:3]
	v_cndmask_b32_e64 v10, 0, 1, s[0:1]
	v_mov_b32_e32 v11, 0
	ds_write_b32 v11, v10 offset:512
	s_waitcnt lgkmcnt(0)
	; wave barrier
	ds_read_b32 v10, v11 offset:512
	s_waitcnt lgkmcnt(0)
	v_cmp_ne_u32_e32 vcc, 0, v10
	s_cbranch_vccz .LBB13_20
.LBB13_19:
	s_endpgm
.LBB13_20:
	s_load_dwordx4 s[16:19], s[4:5], 0x58
	s_load_dwordx2 s[22:23], s[4:5], 0x28
	s_load_dwordx2 s[24:25], s[4:5], 0x48
	v_and_b32_e32 v13, 7, v0
	v_lshrrev_b32_e32 v14, 3, v0
	v_min_i32_e32 v6, v8, v6
	v_max_i32_e32 v8, v14, v13
	s_cmp_lg_u32 s12, 0
	v_lshlrev_b32_e32 v24, 3, v0
	v_cmp_gt_i32_e64 s[0:1], s15, v8
	s_cselect_b64 s[4:5], -1, 0
	s_cmp_eq_u32 s12, 0
	v_lshlrev_b32_e32 v8, 3, v13
	v_and_b32_e32 v0, 56, v0
	v_lshl_or_b32 v25, v14, 6, v8
	v_lshl_or_b32 v26, v13, 6, v0
	s_cselect_b64 vcc, -1, 0
	v_mov_b32_e32 v22, 0x200
	v_mov_b32_e32 v23, 0x204
	v_cndmask_b32_e32 v0, v14, v13, vcc
	v_cndmask_b32_e32 v15, v13, v14, vcc
	;; [unrolled: 1-line block ×3, first 2 shown]
	s_mul_i32 s11, s15, s15
	v_mov_b32_e32 v12, v11
	v_mov_b32_e32 v28, 1
	s_branch .LBB13_22
.LBB13_21:                              ;   in Loop: Header=BB13_22 Depth=1
	s_or_b64 exec, exec, s[2:3]
	v_cmp_le_i32_e32 vcc, s14, v6
	v_cndmask_b32_e64 v8, 0, 1, vcc
	; wave barrier
	; wave barrier
	ds_write_b32 v22, v8
	s_waitcnt lgkmcnt(0)
	; wave barrier
	ds_read_b32 v8, v11 offset:512
	v_add_u32_e32 v9, 1, v9
	s_waitcnt lgkmcnt(0)
	v_cmp_eq_u32_e32 vcc, 0, v8
	s_cbranch_vccz .LBB13_19
.LBB13_22:                              ; =>This Loop Header: Depth=1
                                        ;     Child Loop BB13_25 Depth 2
                                        ;     Child Loop BB13_40 Depth 2
	v_mov_b32_e32 v10, v6
	v_cmp_lt_i32_e32 vcc, v5, v20
	v_mov_b32_e32 v6, s14
	ds_write_b32 v23, v11
	ds_write_b64 v24, v[11:12]
	s_waitcnt lgkmcnt(0)
	; wave barrier
	s_and_saveexec_b64 s[12:13], vcc
	s_cbranch_execz .LBB13_37
; %bb.23:                               ;   in Loop: Header=BB13_22 Depth=1
	v_mul_lo_u32 v6, s15, v5
	s_mov_b64 s[26:27], 0
	v_add_u32_e32 v8, v13, v6
	v_add_u32_e32 v6, v14, v6
	v_mad_u64_u32 v[16:17], s[2:3], s15, v8, v[14:15]
	v_mad_u64_u32 v[17:18], s[2:3], s15, v6, v[13:14]
	v_ashrrev_i32_e32 v6, 31, v5
	v_lshlrev_b64 v[18:19], 2, v[5:6]
	v_mov_b32_e32 v6, s21
	v_add_co_u32_e32 v18, vcc, s20, v18
	v_addc_co_u32_e32 v19, vcc, v6, v19, vcc
	v_mov_b32_e32 v8, 0
	v_mov_b32_e32 v6, s14
	s_branch .LBB13_25
.LBB13_24:                              ;   in Loop: Header=BB13_25 Depth=2
	s_or_b64 exec, exec, s[30:31]
	s_and_b64 s[2:3], exec, s[28:29]
	v_mov_b32_e32 v30, v5
	s_or_b64 s[26:27], s[2:3], s[26:27]
	v_mov_b32_e32 v5, v29
	s_andn2_b64 exec, exec, s[26:27]
	s_cbranch_execz .LBB13_36
.LBB13_25:                              ;   Parent Loop BB13_22 Depth=1
                                        ; =>  This Inner Loop Header: Depth=2
	global_load_dword v29, v[18:19], off
	s_waitcnt vmcnt(0)
	v_subrev_u32_e32 v29, s8, v29
	v_cmp_le_i32_e64 s[2:3], v29, v10
	s_and_saveexec_b64 s[28:29], s[2:3]
	s_xor_b64 s[28:29], exec, s[28:29]
	s_cbranch_execz .LBB13_32
; %bb.26:                               ;   in Loop: Header=BB13_25 Depth=2
	ds_write_b32 v23, v28
	s_and_saveexec_b64 s[30:31], s[0:1]
	s_cbranch_execz .LBB13_31
; %bb.27:                               ;   in Loop: Header=BB13_25 Depth=2
	s_mov_b64 s[34:35], -1
	s_and_b64 vcc, exec, s[4:5]
	s_cbranch_vccz .LBB13_29
; %bb.28:                               ;   in Loop: Header=BB13_25 Depth=2
	v_add_u32_e32 v29, v17, v8
	v_ashrrev_i32_e32 v30, 31, v29
	v_lshlrev_b64 v[29:30], 3, v[29:30]
	v_mov_b32_e32 v31, s23
	v_add_co_u32_e32 v29, vcc, s22, v29
	v_addc_co_u32_e32 v30, vcc, v31, v30, vcc
	global_load_dwordx2 v[29:30], v[29:30], off
	s_mov_b64 s[34:35], 0
	s_waitcnt vmcnt(0)
	v_mul_f64 v[29:30], v[1:2], v[29:30]
	ds_write_b64 v25, v[29:30]
.LBB13_29:                              ;   in Loop: Header=BB13_25 Depth=2
	s_andn2_b64 vcc, exec, s[34:35]
	s_cbranch_vccnz .LBB13_31
; %bb.30:                               ;   in Loop: Header=BB13_25 Depth=2
	v_add_u32_e32 v29, v16, v8
	v_ashrrev_i32_e32 v30, 31, v29
	v_lshlrev_b64 v[29:30], 3, v[29:30]
	v_mov_b32_e32 v31, s23
	v_add_co_u32_e32 v29, vcc, s22, v29
	v_addc_co_u32_e32 v30, vcc, v31, v30, vcc
	global_load_dwordx2 v[29:30], v[29:30], off
	s_waitcnt vmcnt(0)
	v_mul_f64 v[29:30], v[1:2], v[29:30]
	ds_write_b64 v26, v[29:30]
.LBB13_31:                              ;   in Loop: Header=BB13_25 Depth=2
	s_or_b64 exec, exec, s[30:31]
                                        ; implicit-def: $vgpr29
	s_andn2_saveexec_b64 s[28:29], s[28:29]
	s_branch .LBB13_33
.LBB13_32:                              ;   in Loop: Header=BB13_25 Depth=2
	s_andn2_saveexec_b64 s[28:29], s[28:29]
.LBB13_33:                              ;   in Loop: Header=BB13_25 Depth=2
	v_min_i32_e32 v6, v29, v6
; %bb.34:                               ;   in Loop: Header=BB13_25 Depth=2
	s_or_b64 exec, exec, s[28:29]
	s_mov_b64 s[28:29], -1
                                        ; implicit-def: $vgpr29
	s_and_saveexec_b64 s[30:31], s[2:3]
	s_cbranch_execz .LBB13_24
; %bb.35:                               ;   in Loop: Header=BB13_25 Depth=2
	v_add_co_u32_e32 v18, vcc, 4, v18
	v_add_u32_e32 v29, 1, v5
	v_addc_co_u32_e32 v19, vcc, 0, v19, vcc
	v_cmp_ge_i32_e32 vcc, v29, v20
	v_add_u32_e32 v8, s11, v8
	s_orn2_b64 s[28:29], vcc, exec
	v_mov_b32_e32 v5, v20
	s_branch .LBB13_24
.LBB13_36:                              ;   in Loop: Header=BB13_22 Depth=1
	s_or_b64 exec, exec, s[26:27]
	v_mov_b32_e32 v5, v30
.LBB13_37:                              ;   in Loop: Header=BB13_22 Depth=1
	s_or_b64 exec, exec, s[12:13]
	v_cmp_lt_i32_e32 vcc, v7, v21
	s_waitcnt lgkmcnt(0)
	; wave barrier
	s_and_saveexec_b64 s[12:13], vcc
	s_cbranch_execz .LBB13_52
; %bb.38:                               ;   in Loop: Header=BB13_22 Depth=1
	v_mul_lo_u32 v8, s15, v7
	s_mov_b64 s[26:27], 0
	v_add_u32_e32 v16, v13, v8
	v_add_u32_e32 v8, v14, v8
	v_mad_u64_u32 v[16:17], s[2:3], s15, v16, v[14:15]
	v_mad_u64_u32 v[17:18], s[2:3], s15, v8, v[13:14]
	v_ashrrev_i32_e32 v8, 31, v7
	v_lshlrev_b64 v[18:19], 2, v[7:8]
	v_mov_b32_e32 v8, s7
	v_add_co_u32_e32 v18, vcc, s6, v18
	v_addc_co_u32_e32 v19, vcc, v8, v19, vcc
	v_mov_b32_e32 v8, 0
	s_branch .LBB13_40
.LBB13_39:                              ;   in Loop: Header=BB13_40 Depth=2
	s_or_b64 exec, exec, s[30:31]
	s_and_b64 s[2:3], exec, s[28:29]
	v_mov_b32_e32 v30, v7
	s_or_b64 s[26:27], s[2:3], s[26:27]
	v_mov_b32_e32 v7, v29
	s_andn2_b64 exec, exec, s[26:27]
	s_cbranch_execz .LBB13_51
.LBB13_40:                              ;   Parent Loop BB13_22 Depth=1
                                        ; =>  This Inner Loop Header: Depth=2
	global_load_dword v29, v[18:19], off
	s_waitcnt vmcnt(0)
	v_subrev_u32_e32 v29, s9, v29
	v_cmp_le_i32_e64 s[2:3], v29, v10
	s_and_saveexec_b64 s[28:29], s[2:3]
	s_xor_b64 s[28:29], exec, s[28:29]
	s_cbranch_execz .LBB13_47
; %bb.41:                               ;   in Loop: Header=BB13_40 Depth=2
	ds_write_b32 v23, v28
	s_and_saveexec_b64 s[30:31], s[0:1]
	s_cbranch_execz .LBB13_46
; %bb.42:                               ;   in Loop: Header=BB13_40 Depth=2
	s_mov_b64 s[34:35], -1
	s_and_b64 vcc, exec, s[4:5]
	s_cbranch_vccz .LBB13_44
; %bb.43:                               ;   in Loop: Header=BB13_40 Depth=2
	v_add_u32_e32 v29, v17, v8
	v_ashrrev_i32_e32 v30, 31, v29
	v_lshlrev_b64 v[29:30], 3, v[29:30]
	v_mov_b32_e32 v31, s25
	v_add_co_u32_e32 v29, vcc, s24, v29
	v_addc_co_u32_e32 v30, vcc, v31, v30, vcc
	global_load_dwordx2 v[29:30], v[29:30], off
	ds_read_b64 v[31:32], v25
	s_mov_b64 s[34:35], 0
	s_waitcnt vmcnt(0) lgkmcnt(0)
	v_fma_f64 v[29:30], v[3:4], v[29:30], v[31:32]
	ds_write_b64 v25, v[29:30]
.LBB13_44:                              ;   in Loop: Header=BB13_40 Depth=2
	s_andn2_b64 vcc, exec, s[34:35]
	s_cbranch_vccnz .LBB13_46
; %bb.45:                               ;   in Loop: Header=BB13_40 Depth=2
	v_add_u32_e32 v29, v16, v8
	v_ashrrev_i32_e32 v30, 31, v29
	v_lshlrev_b64 v[29:30], 3, v[29:30]
	v_mov_b32_e32 v31, s25
	v_add_co_u32_e32 v29, vcc, s24, v29
	v_addc_co_u32_e32 v30, vcc, v31, v30, vcc
	global_load_dwordx2 v[29:30], v[29:30], off
	ds_read_b64 v[31:32], v26
	s_waitcnt vmcnt(0) lgkmcnt(0)
	v_fma_f64 v[29:30], v[3:4], v[29:30], v[31:32]
	ds_write_b64 v26, v[29:30]
.LBB13_46:                              ;   in Loop: Header=BB13_40 Depth=2
	s_or_b64 exec, exec, s[30:31]
                                        ; implicit-def: $vgpr29
	s_andn2_saveexec_b64 s[28:29], s[28:29]
	s_branch .LBB13_48
.LBB13_47:                              ;   in Loop: Header=BB13_40 Depth=2
	s_andn2_saveexec_b64 s[28:29], s[28:29]
.LBB13_48:                              ;   in Loop: Header=BB13_40 Depth=2
	v_min_i32_e32 v6, v29, v6
; %bb.49:                               ;   in Loop: Header=BB13_40 Depth=2
	s_or_b64 exec, exec, s[28:29]
	s_mov_b64 s[28:29], -1
                                        ; implicit-def: $vgpr29
	s_and_saveexec_b64 s[30:31], s[2:3]
	s_cbranch_execz .LBB13_39
; %bb.50:                               ;   in Loop: Header=BB13_40 Depth=2
	v_add_co_u32_e32 v18, vcc, 4, v18
	v_add_u32_e32 v29, 1, v7
	v_addc_co_u32_e32 v19, vcc, 0, v19, vcc
	v_cmp_ge_i32_e32 vcc, v29, v21
	v_add_u32_e32 v8, s11, v8
	s_orn2_b64 s[28:29], vcc, exec
	v_mov_b32_e32 v7, v21
	s_branch .LBB13_39
.LBB13_51:                              ;   in Loop: Header=BB13_22 Depth=1
	s_or_b64 exec, exec, s[26:27]
	v_mov_b32_e32 v7, v30
.LBB13_52:                              ;   in Loop: Header=BB13_22 Depth=1
	s_or_b64 exec, exec, s[12:13]
	s_waitcnt lgkmcnt(0)
	; wave barrier
	ds_read_b32 v8, v23
	s_waitcnt lgkmcnt(0)
	v_cmp_ne_u32_e32 vcc, 0, v8
	s_and_saveexec_b64 s[2:3], vcc
	s_cbranch_execz .LBB13_21
; %bb.53:                               ;   in Loop: Header=BB13_22 Depth=1
	v_add_u32_e32 v8, s10, v10
	v_ashrrev_i32_e32 v10, 31, v9
	v_lshlrev_b64 v[16:17], 2, v[9:10]
	v_mov_b32_e32 v10, s17
	v_add_co_u32_e32 v16, vcc, s16, v16
	v_addc_co_u32_e32 v17, vcc, v10, v17, vcc
	global_store_dword v[16:17], v8, off
	s_and_b64 exec, exec, s[0:1]
	s_cbranch_execz .LBB13_21
; %bb.54:                               ;   in Loop: Header=BB13_22 Depth=1
	s_waitcnt vmcnt(0)
	v_mad_u64_u32 v[16:17], s[12:13], v9, s15, v[0:1]
	ds_read_b64 v[18:19], v27
	v_mov_b32_e32 v8, s19
	v_mad_u64_u32 v[16:17], s[12:13], v16, s15, v[15:16]
	v_ashrrev_i32_e32 v17, 31, v16
	v_lshlrev_b64 v[16:17], 3, v[16:17]
	v_add_co_u32_e32 v16, vcc, s18, v16
	v_addc_co_u32_e32 v17, vcc, v8, v17, vcc
	s_waitcnt lgkmcnt(0)
	global_store_dwordx2 v[16:17], v[18:19], off
	s_branch .LBB13_21
	.section	.rodata,"a",@progbits
	.p2align	6, 0x0
	.amdhsa_kernel _ZN9rocsparseL35bsrgeam_wf_per_row_multipass_kernelILj64ELj8EdEEv20rocsparse_direction_iiiNS_24const_host_device_scalarIT1_EEPKiS6_PKS3_S4_S6_S6_S8_S6_PiPS3_21rocsparse_index_base_SB_SB_b
		.amdhsa_group_segment_fixed_size 520
		.amdhsa_private_segment_fixed_size 0
		.amdhsa_kernarg_size 120
		.amdhsa_user_sgpr_count 6
		.amdhsa_user_sgpr_private_segment_buffer 1
		.amdhsa_user_sgpr_dispatch_ptr 0
		.amdhsa_user_sgpr_queue_ptr 0
		.amdhsa_user_sgpr_kernarg_segment_ptr 1
		.amdhsa_user_sgpr_dispatch_id 0
		.amdhsa_user_sgpr_flat_scratch_init 0
		.amdhsa_user_sgpr_private_segment_size 0
		.amdhsa_uses_dynamic_stack 0
		.amdhsa_system_sgpr_private_segment_wavefront_offset 0
		.amdhsa_system_sgpr_workgroup_id_x 1
		.amdhsa_system_sgpr_workgroup_id_y 0
		.amdhsa_system_sgpr_workgroup_id_z 0
		.amdhsa_system_sgpr_workgroup_info 0
		.amdhsa_system_vgpr_workitem_id 0
		.amdhsa_next_free_vgpr 33
		.amdhsa_next_free_sgpr 36
		.amdhsa_reserve_vcc 1
		.amdhsa_reserve_flat_scratch 0
		.amdhsa_float_round_mode_32 0
		.amdhsa_float_round_mode_16_64 0
		.amdhsa_float_denorm_mode_32 3
		.amdhsa_float_denorm_mode_16_64 3
		.amdhsa_dx10_clamp 1
		.amdhsa_ieee_mode 1
		.amdhsa_fp16_overflow 0
		.amdhsa_exception_fp_ieee_invalid_op 0
		.amdhsa_exception_fp_denorm_src 0
		.amdhsa_exception_fp_ieee_div_zero 0
		.amdhsa_exception_fp_ieee_overflow 0
		.amdhsa_exception_fp_ieee_underflow 0
		.amdhsa_exception_fp_ieee_inexact 0
		.amdhsa_exception_int_div_zero 0
	.end_amdhsa_kernel
	.section	.text._ZN9rocsparseL35bsrgeam_wf_per_row_multipass_kernelILj64ELj8EdEEv20rocsparse_direction_iiiNS_24const_host_device_scalarIT1_EEPKiS6_PKS3_S4_S6_S6_S8_S6_PiPS3_21rocsparse_index_base_SB_SB_b,"axG",@progbits,_ZN9rocsparseL35bsrgeam_wf_per_row_multipass_kernelILj64ELj8EdEEv20rocsparse_direction_iiiNS_24const_host_device_scalarIT1_EEPKiS6_PKS3_S4_S6_S6_S8_S6_PiPS3_21rocsparse_index_base_SB_SB_b,comdat
.Lfunc_end13:
	.size	_ZN9rocsparseL35bsrgeam_wf_per_row_multipass_kernelILj64ELj8EdEEv20rocsparse_direction_iiiNS_24const_host_device_scalarIT1_EEPKiS6_PKS3_S4_S6_S6_S8_S6_PiPS3_21rocsparse_index_base_SB_SB_b, .Lfunc_end13-_ZN9rocsparseL35bsrgeam_wf_per_row_multipass_kernelILj64ELj8EdEEv20rocsparse_direction_iiiNS_24const_host_device_scalarIT1_EEPKiS6_PKS3_S4_S6_S6_S8_S6_PiPS3_21rocsparse_index_base_SB_SB_b
                                        ; -- End function
	.set _ZN9rocsparseL35bsrgeam_wf_per_row_multipass_kernelILj64ELj8EdEEv20rocsparse_direction_iiiNS_24const_host_device_scalarIT1_EEPKiS6_PKS3_S4_S6_S6_S8_S6_PiPS3_21rocsparse_index_base_SB_SB_b.num_vgpr, 33
	.set _ZN9rocsparseL35bsrgeam_wf_per_row_multipass_kernelILj64ELj8EdEEv20rocsparse_direction_iiiNS_24const_host_device_scalarIT1_EEPKiS6_PKS3_S4_S6_S6_S8_S6_PiPS3_21rocsparse_index_base_SB_SB_b.num_agpr, 0
	.set _ZN9rocsparseL35bsrgeam_wf_per_row_multipass_kernelILj64ELj8EdEEv20rocsparse_direction_iiiNS_24const_host_device_scalarIT1_EEPKiS6_PKS3_S4_S6_S6_S8_S6_PiPS3_21rocsparse_index_base_SB_SB_b.numbered_sgpr, 36
	.set _ZN9rocsparseL35bsrgeam_wf_per_row_multipass_kernelILj64ELj8EdEEv20rocsparse_direction_iiiNS_24const_host_device_scalarIT1_EEPKiS6_PKS3_S4_S6_S6_S8_S6_PiPS3_21rocsparse_index_base_SB_SB_b.num_named_barrier, 0
	.set _ZN9rocsparseL35bsrgeam_wf_per_row_multipass_kernelILj64ELj8EdEEv20rocsparse_direction_iiiNS_24const_host_device_scalarIT1_EEPKiS6_PKS3_S4_S6_S6_S8_S6_PiPS3_21rocsparse_index_base_SB_SB_b.private_seg_size, 0
	.set _ZN9rocsparseL35bsrgeam_wf_per_row_multipass_kernelILj64ELj8EdEEv20rocsparse_direction_iiiNS_24const_host_device_scalarIT1_EEPKiS6_PKS3_S4_S6_S6_S8_S6_PiPS3_21rocsparse_index_base_SB_SB_b.uses_vcc, 1
	.set _ZN9rocsparseL35bsrgeam_wf_per_row_multipass_kernelILj64ELj8EdEEv20rocsparse_direction_iiiNS_24const_host_device_scalarIT1_EEPKiS6_PKS3_S4_S6_S6_S8_S6_PiPS3_21rocsparse_index_base_SB_SB_b.uses_flat_scratch, 0
	.set _ZN9rocsparseL35bsrgeam_wf_per_row_multipass_kernelILj64ELj8EdEEv20rocsparse_direction_iiiNS_24const_host_device_scalarIT1_EEPKiS6_PKS3_S4_S6_S6_S8_S6_PiPS3_21rocsparse_index_base_SB_SB_b.has_dyn_sized_stack, 0
	.set _ZN9rocsparseL35bsrgeam_wf_per_row_multipass_kernelILj64ELj8EdEEv20rocsparse_direction_iiiNS_24const_host_device_scalarIT1_EEPKiS6_PKS3_S4_S6_S6_S8_S6_PiPS3_21rocsparse_index_base_SB_SB_b.has_recursion, 0
	.set _ZN9rocsparseL35bsrgeam_wf_per_row_multipass_kernelILj64ELj8EdEEv20rocsparse_direction_iiiNS_24const_host_device_scalarIT1_EEPKiS6_PKS3_S4_S6_S6_S8_S6_PiPS3_21rocsparse_index_base_SB_SB_b.has_indirect_call, 0
	.section	.AMDGPU.csdata,"",@progbits
; Kernel info:
; codeLenInByte = 1796
; TotalNumSgprs: 40
; NumVgprs: 33
; ScratchSize: 0
; MemoryBound: 0
; FloatMode: 240
; IeeeMode: 1
; LDSByteSize: 520 bytes/workgroup (compile time only)
; SGPRBlocks: 4
; VGPRBlocks: 8
; NumSGPRsForWavesPerEU: 40
; NumVGPRsForWavesPerEU: 33
; Occupancy: 7
; WaveLimiterHint : 1
; COMPUTE_PGM_RSRC2:SCRATCH_EN: 0
; COMPUTE_PGM_RSRC2:USER_SGPR: 6
; COMPUTE_PGM_RSRC2:TRAP_HANDLER: 0
; COMPUTE_PGM_RSRC2:TGID_X_EN: 1
; COMPUTE_PGM_RSRC2:TGID_Y_EN: 0
; COMPUTE_PGM_RSRC2:TGID_Z_EN: 0
; COMPUTE_PGM_RSRC2:TIDIG_COMP_CNT: 0
	.section	.text._ZN9rocsparseL39bsrgeam_block_per_row_multipass_kernel2ILj256ELj16EdEEv20rocsparse_direction_iiiNS_24const_host_device_scalarIT1_EEPKiS6_PKS3_S4_S6_S6_S8_S6_PiPS3_21rocsparse_index_base_SB_SB_b,"axG",@progbits,_ZN9rocsparseL39bsrgeam_block_per_row_multipass_kernel2ILj256ELj16EdEEv20rocsparse_direction_iiiNS_24const_host_device_scalarIT1_EEPKiS6_PKS3_S4_S6_S6_S8_S6_PiPS3_21rocsparse_index_base_SB_SB_b,comdat
	.globl	_ZN9rocsparseL39bsrgeam_block_per_row_multipass_kernel2ILj256ELj16EdEEv20rocsparse_direction_iiiNS_24const_host_device_scalarIT1_EEPKiS6_PKS3_S4_S6_S6_S8_S6_PiPS3_21rocsparse_index_base_SB_SB_b ; -- Begin function _ZN9rocsparseL39bsrgeam_block_per_row_multipass_kernel2ILj256ELj16EdEEv20rocsparse_direction_iiiNS_24const_host_device_scalarIT1_EEPKiS6_PKS3_S4_S6_S6_S8_S6_PiPS3_21rocsparse_index_base_SB_SB_b
	.p2align	8
	.type	_ZN9rocsparseL39bsrgeam_block_per_row_multipass_kernel2ILj256ELj16EdEEv20rocsparse_direction_iiiNS_24const_host_device_scalarIT1_EEPKiS6_PKS3_S4_S6_S6_S8_S6_PiPS3_21rocsparse_index_base_SB_SB_b,@function
_ZN9rocsparseL39bsrgeam_block_per_row_multipass_kernel2ILj256ELj16EdEEv20rocsparse_direction_iiiNS_24const_host_device_scalarIT1_EEPKiS6_PKS3_S4_S6_S6_S8_S6_PiPS3_21rocsparse_index_base_SB_SB_b: ; @_ZN9rocsparseL39bsrgeam_block_per_row_multipass_kernel2ILj256ELj16EdEEv20rocsparse_direction_iiiNS_24const_host_device_scalarIT1_EEPKiS6_PKS3_S4_S6_S6_S8_S6_PiPS3_21rocsparse_index_base_SB_SB_b
; %bb.0:
	s_load_dwordx4 s[8:11], s[4:5], 0x68
	s_load_dwordx2 s[22:23], s[4:5], 0x50
	s_load_dwordx4 s[12:15], s[4:5], 0x10
	s_load_dwordx4 s[0:3], s[4:5], 0x30
	s_waitcnt lgkmcnt(0)
	s_bitcmp1_b32 s11, 0
	s_cselect_b64 s[16:17], -1, 0
	v_mov_b32_e32 v1, s12
	s_xor_b64 s[18:19], s[16:17], -1
	s_and_b64 vcc, exec, s[16:17]
	v_mov_b32_e32 v2, s13
	s_cbranch_vccnz .LBB14_2
; %bb.1:
	v_mov_b32_e32 v1, s12
	v_mov_b32_e32 v2, s13
	flat_load_dwordx2 v[1:2], v[1:2]
.LBB14_2:
	s_load_dwordx2 s[16:17], s[4:5], 0x20
	v_mov_b32_e32 v4, s1
	s_andn2_b64 vcc, exec, s[18:19]
	v_mov_b32_e32 v3, s0
	s_cbranch_vccnz .LBB14_4
; %bb.3:
	v_mov_b32_e32 v4, s1
	v_mov_b32_e32 v3, s0
	flat_load_dwordx2 v[3:4], v[3:4]
.LBB14_4:
	s_ashr_i32 s7, s6, 31
	s_lshl_b64 s[12:13], s[6:7], 2
	s_add_u32 s14, s14, s12
	s_addc_u32 s15, s15, s13
	s_load_dwordx2 s[0:1], s[14:15], 0x0
	s_load_dwordx2 s[6:7], s[4:5], 0x40
	;; [unrolled: 1-line block ×3, first 2 shown]
	s_waitcnt lgkmcnt(0)
	s_sub_i32 s20, s0, s8
	s_add_u32 s2, s2, s12
	s_addc_u32 s3, s3, s13
	s_load_dwordx2 s[26:27], s[2:3], 0x0
	s_add_u32 s24, s22, s12
	s_addc_u32 s25, s23, s13
	s_cmp_ge_i32 s0, s1
	s_mov_b32 s0, s18
	s_cbranch_scc1 .LBB14_6
; %bb.5:
	s_ashr_i32 s21, s20, 31
	s_lshl_b64 s[2:3], s[20:21], 2
	s_add_u32 s2, s16, s2
	s_addc_u32 s3, s17, s3
	s_load_dword s0, s[2:3], 0x0
	s_waitcnt lgkmcnt(0)
	s_sub_i32 s0, s0, s8
.LBB14_6:
	s_load_dwordx4 s[12:15], s[4:5], 0x58
	s_load_dwordx2 s[2:3], s[4:5], 0x28
	s_load_dwordx2 s[22:23], s[4:5], 0x48
	s_load_dword s21, s[24:25], 0x0
	s_waitcnt lgkmcnt(0)
	s_sub_i32 s24, s26, s9
	s_cmp_ge_i32 s26, s27
	s_mov_b32 s25, s18
	s_cbranch_scc1 .LBB14_8
; %bb.7:
	s_ashr_i32 s25, s24, 31
	s_lshl_b64 s[28:29], s[24:25], 2
	s_add_u32 s28, s6, s28
	s_addc_u32 s29, s7, s29
	s_load_dword s11, s[28:29], 0x0
	s_waitcnt lgkmcnt(0)
	s_sub_i32 s25, s11, s9
.LBB14_8:
	s_load_dword s4, s[4:5], 0x0
	v_and_b32_e32 v5, 15, v0
	v_lshrrev_b32_e32 v6, 4, v0
	s_sub_i32 s11, s1, s8
	s_sub_i32 s33, s27, s9
	s_min_i32 s27, s25, s0
	v_cmp_gt_u32_e32 vcc, s19, v5
	v_cmp_gt_i32_e64 s[0:1], s19, v6
	s_sub_i32 s26, s21, s10
	s_and_b64 s[0:1], vcc, s[0:1]
	v_lshlrev_b32_e32 v7, 3, v6
	s_waitcnt lgkmcnt(0)
	s_cmp_lg_u32 s4, 0
	v_lshlrev_b32_e32 v11, 7, v5
	v_mov_b32_e32 v8, 0
	v_lshlrev_b32_e32 v0, 3, v0
	s_cselect_b64 s[4:5], -1, 0
	s_mul_i32 s38, s19, s19
	v_mov_b32_e32 v9, v8
	v_mov_b32_e32 v10, v8
	;; [unrolled: 1-line block ×3, first 2 shown]
	v_add_u32_e32 v15, v7, v11
	s_branch .LBB14_11
.LBB14_9:                               ;   in Loop: Header=BB14_11 Depth=1
	s_or_b64 exec, exec, s[28:29]
.LBB14_10:                              ;   in Loop: Header=BB14_11 Depth=1
	s_waitcnt vmcnt(0)
	s_barrier
	ds_read_b32 v7, v8 offset:2048
	s_mov_b32 s27, s25
	s_waitcnt lgkmcnt(0)
	s_barrier
	v_readfirstlane_b32 s21, v7
	s_add_i32 s26, s21, s26
	s_cmp_lt_i32 s25, s18
	s_cbranch_scc0 .LBB14_49
.LBB14_11:                              ; =>This Loop Header: Depth=1
                                        ;     Child Loop BB14_13 Depth 2
                                        ;     Child Loop BB14_29 Depth 2
	s_cmp_ge_i32 s20, s11
	ds_write_b32 v8, v8 offset:2048
	ds_write_b64 v0, v[9:10]
	s_waitcnt vmcnt(0) lgkmcnt(0)
	s_barrier
	s_cbranch_scc1 .LBB14_26
; %bb.12:                               ;   in Loop: Header=BB14_11 Depth=1
	s_mul_i32 s21, s19, s20
	v_add_u32_e32 v7, s21, v6
	v_mad_u64_u32 v[11:12], s[28:29], s19, v7, v[5:6]
	v_add_u32_e32 v7, s21, v5
	v_mad_u64_u32 v[12:13], s[28:29], s19, v7, v[6:7]
	s_ashr_i32 s21, s20, 31
	s_lshl_b64 s[28:29], s[20:21], 2
	s_add_u32 s28, s16, s28
	s_addc_u32 s29, s17, s29
	s_mov_b32 s25, 0
	s_mov_b32 s39, s18
.LBB14_13:                              ;   Parent Loop BB14_11 Depth=1
                                        ; =>  This Inner Loop Header: Depth=2
	s_load_dword s21, s[28:29], 0x0
	s_mov_b64 s[34:35], -1
	s_waitcnt lgkmcnt(0)
	s_sub_i32 s36, s21, s8
	s_cmp_eq_u32 s36, s27
	s_cselect_b64 s[30:31], -1, 0
	s_cmp_lg_u32 s36, s27
                                        ; implicit-def: $sgpr21
	s_cbranch_scc1 .LBB14_17
; %bb.14:                               ;   in Loop: Header=BB14_13 Depth=2
	s_andn2_b64 vcc, exec, s[34:35]
	s_cbranch_vccz .LBB14_18
.LBB14_15:                              ;   in Loop: Header=BB14_13 Depth=2
	s_andn2_b64 vcc, exec, s[30:31]
	s_mov_b64 s[30:31], -1
	s_cbranch_vccnz .LBB14_23
.LBB14_16:                              ;   in Loop: Header=BB14_13 Depth=2
	s_add_i32 s20, s20, 1
	s_add_i32 s25, s25, s38
	s_add_u32 s28, s28, 4
	s_addc_u32 s29, s29, 0
	s_cmp_ge_i32 s20, s11
	s_cselect_b64 s[30:31], -1, 0
	s_andn2_b64 vcc, exec, s[30:31]
	s_cbranch_vccnz .LBB14_24
	s_branch .LBB14_27
.LBB14_17:                              ;   in Loop: Header=BB14_13 Depth=2
	s_min_i32 s21, s36, s39
	s_cbranch_execnz .LBB14_15
.LBB14_18:                              ;   in Loop: Header=BB14_13 Depth=2
	ds_write_b32 v8, v14 offset:2048
	s_and_saveexec_b64 s[34:35], s[0:1]
	s_cbranch_execz .LBB14_22
; %bb.19:                               ;   in Loop: Header=BB14_13 Depth=2
	s_and_b64 vcc, exec, s[4:5]
	s_cbranch_vccz .LBB14_25
; %bb.20:                               ;   in Loop: Header=BB14_13 Depth=2
	v_add_u32_e32 v7, s25, v12
	v_lshlrev_b64 v[16:17], 3, v[7:8]
	v_mov_b32_e32 v7, s3
	v_add_co_u32_e32 v16, vcc, s2, v16
	v_addc_co_u32_e32 v17, vcc, v7, v17, vcc
	global_load_dwordx2 v[16:17], v[16:17], off
	s_waitcnt vmcnt(0)
	v_mul_f64 v[16:17], v[1:2], v[16:17]
	ds_write_b64 v15, v[16:17]
	s_cbranch_execnz .LBB14_22
.LBB14_21:                              ;   in Loop: Header=BB14_13 Depth=2
	v_add_u32_e32 v7, s25, v11
	v_lshlrev_b64 v[16:17], 3, v[7:8]
	v_mov_b32_e32 v7, s3
	v_add_co_u32_e32 v16, vcc, s2, v16
	v_addc_co_u32_e32 v17, vcc, v7, v17, vcc
	global_load_dwordx2 v[16:17], v[16:17], off
	s_waitcnt vmcnt(0)
	v_mul_f64 v[16:17], v[1:2], v[16:17]
	ds_write_b64 v0, v[16:17]
.LBB14_22:                              ;   in Loop: Header=BB14_13 Depth=2
	s_or_b64 exec, exec, s[34:35]
	s_mov_b32 s21, s39
	s_andn2_b64 vcc, exec, s[30:31]
	s_mov_b64 s[30:31], -1
	s_cbranch_vccz .LBB14_16
.LBB14_23:                              ;   in Loop: Header=BB14_13 Depth=2
                                        ; implicit-def: $sgpr25
                                        ; implicit-def: $sgpr28_sgpr29
	s_andn2_b64 vcc, exec, s[30:31]
	s_cbranch_vccz .LBB14_27
.LBB14_24:                              ;   in Loop: Header=BB14_13 Depth=2
	s_mov_b32 s39, s21
	s_branch .LBB14_13
.LBB14_25:                              ;   in Loop: Header=BB14_13 Depth=2
	s_branch .LBB14_21
.LBB14_26:                              ;   in Loop: Header=BB14_11 Depth=1
	s_mov_b32 s21, s18
.LBB14_27:                              ;   in Loop: Header=BB14_11 Depth=1
	s_cmp_ge_i32 s24, s33
	s_waitcnt lgkmcnt(0)
	s_barrier
	s_cbranch_scc1 .LBB14_42
; %bb.28:                               ;   in Loop: Header=BB14_11 Depth=1
	s_mul_i32 s25, s19, s24
	v_add_u32_e32 v7, s25, v6
	v_mad_u64_u32 v[11:12], s[28:29], s19, v7, v[5:6]
	v_add_u32_e32 v7, s25, v5
	v_mad_u64_u32 v[12:13], s[28:29], s19, v7, v[6:7]
	s_ashr_i32 s25, s24, 31
	s_lshl_b64 s[28:29], s[24:25], 2
	s_add_u32 s28, s6, s28
	s_addc_u32 s29, s7, s29
	s_mov_b32 s39, 0
.LBB14_29:                              ;   Parent Loop BB14_11 Depth=1
                                        ; =>  This Inner Loop Header: Depth=2
	s_load_dword s25, s[28:29], 0x0
	s_mov_b64 s[34:35], -1
	s_waitcnt lgkmcnt(0)
	s_sub_i32 s36, s25, s9
	s_cmp_eq_u32 s36, s27
	s_cselect_b64 s[30:31], -1, 0
	s_cmp_lg_u32 s36, s27
                                        ; implicit-def: $sgpr25
	s_cbranch_scc1 .LBB14_33
; %bb.30:                               ;   in Loop: Header=BB14_29 Depth=2
	s_andn2_b64 vcc, exec, s[34:35]
	s_cbranch_vccz .LBB14_34
.LBB14_31:                              ;   in Loop: Header=BB14_29 Depth=2
	s_andn2_b64 vcc, exec, s[30:31]
	s_mov_b64 s[30:31], -1
	s_cbranch_vccnz .LBB14_39
.LBB14_32:                              ;   in Loop: Header=BB14_29 Depth=2
	s_add_i32 s24, s24, 1
	s_add_i32 s39, s39, s38
	s_add_u32 s28, s28, 4
	s_addc_u32 s29, s29, 0
	s_cmp_ge_i32 s24, s33
	s_cselect_b64 s[30:31], -1, 0
	s_andn2_b64 vcc, exec, s[30:31]
	s_cbranch_vccnz .LBB14_40
	s_branch .LBB14_43
.LBB14_33:                              ;   in Loop: Header=BB14_29 Depth=2
	s_min_i32 s25, s36, s21
	s_cbranch_execnz .LBB14_31
.LBB14_34:                              ;   in Loop: Header=BB14_29 Depth=2
	ds_write_b32 v8, v14 offset:2048
	s_and_saveexec_b64 s[34:35], s[0:1]
	s_cbranch_execz .LBB14_38
; %bb.35:                               ;   in Loop: Header=BB14_29 Depth=2
	s_and_b64 vcc, exec, s[4:5]
	s_cbranch_vccz .LBB14_41
; %bb.36:                               ;   in Loop: Header=BB14_29 Depth=2
	v_add_u32_e32 v7, s39, v12
	v_lshlrev_b64 v[16:17], 3, v[7:8]
	v_mov_b32_e32 v7, s23
	v_add_co_u32_e32 v16, vcc, s22, v16
	v_addc_co_u32_e32 v17, vcc, v7, v17, vcc
	global_load_dwordx2 v[16:17], v[16:17], off
	ds_read_b64 v[18:19], v15
	s_waitcnt vmcnt(0) lgkmcnt(0)
	v_fma_f64 v[16:17], v[3:4], v[16:17], v[18:19]
	ds_write_b64 v15, v[16:17]
	s_cbranch_execnz .LBB14_38
.LBB14_37:                              ;   in Loop: Header=BB14_29 Depth=2
	v_add_u32_e32 v7, s39, v11
	v_lshlrev_b64 v[16:17], 3, v[7:8]
	v_mov_b32_e32 v7, s23
	v_add_co_u32_e32 v16, vcc, s22, v16
	v_addc_co_u32_e32 v17, vcc, v7, v17, vcc
	global_load_dwordx2 v[16:17], v[16:17], off
	ds_read_b64 v[18:19], v0
	s_waitcnt vmcnt(0) lgkmcnt(0)
	v_fma_f64 v[16:17], v[3:4], v[16:17], v[18:19]
	ds_write_b64 v0, v[16:17]
.LBB14_38:                              ;   in Loop: Header=BB14_29 Depth=2
	s_or_b64 exec, exec, s[34:35]
	s_mov_b32 s25, s21
	s_andn2_b64 vcc, exec, s[30:31]
	s_mov_b64 s[30:31], -1
	s_cbranch_vccz .LBB14_32
.LBB14_39:                              ;   in Loop: Header=BB14_29 Depth=2
                                        ; implicit-def: $sgpr39
                                        ; implicit-def: $sgpr28_sgpr29
	s_andn2_b64 vcc, exec, s[30:31]
	s_cbranch_vccz .LBB14_43
.LBB14_40:                              ;   in Loop: Header=BB14_29 Depth=2
	s_mov_b32 s21, s25
	s_branch .LBB14_29
.LBB14_41:                              ;   in Loop: Header=BB14_29 Depth=2
	s_branch .LBB14_37
.LBB14_42:                              ;   in Loop: Header=BB14_11 Depth=1
	s_mov_b32 s25, s21
.LBB14_43:                              ;   in Loop: Header=BB14_11 Depth=1
	s_waitcnt lgkmcnt(0)
	s_barrier
	ds_read_b32 v7, v8 offset:2048
	s_waitcnt lgkmcnt(0)
	v_cmp_eq_u32_e32 vcc, 0, v7
	s_cbranch_vccnz .LBB14_10
; %bb.44:                               ;   in Loop: Header=BB14_11 Depth=1
	s_add_i32 s21, s27, s10
	s_ashr_i32 s27, s26, 31
	s_lshl_b64 s[28:29], s[26:27], 2
	s_add_u32 s28, s12, s28
	s_addc_u32 s29, s13, s29
	v_mov_b32_e32 v7, s21
	global_store_dword v8, v7, s[28:29]
	s_and_saveexec_b64 s[28:29], s[0:1]
	s_cbranch_execz .LBB14_9
; %bb.45:                               ;   in Loop: Header=BB14_11 Depth=1
	s_mul_i32 s21, s26, s19
	s_and_b64 vcc, exec, s[4:5]
	s_cbranch_vccz .LBB14_47
; %bb.46:                               ;   in Loop: Header=BB14_11 Depth=1
	v_add_u32_e32 v7, s21, v5
	v_mad_u64_u32 v[11:12], s[30:31], v7, s19, v[6:7]
	v_mov_b32_e32 v12, v8
	ds_read_b64 v[16:17], v15
	v_lshlrev_b64 v[11:12], 3, v[11:12]
	v_mov_b32_e32 v7, s15
	v_add_co_u32_e32 v11, vcc, s14, v11
	v_addc_co_u32_e32 v12, vcc, v7, v12, vcc
	s_waitcnt lgkmcnt(0)
	global_store_dwordx2 v[11:12], v[16:17], off
	s_cbranch_execnz .LBB14_9
	s_branch .LBB14_48
.LBB14_47:                              ;   in Loop: Header=BB14_11 Depth=1
.LBB14_48:                              ;   in Loop: Header=BB14_11 Depth=1
	v_add_u32_e32 v7, s21, v6
	v_mad_u64_u32 v[11:12], s[30:31], v7, s19, v[5:6]
	v_mov_b32_e32 v12, v8
	ds_read_b64 v[16:17], v0
	v_lshlrev_b64 v[11:12], 3, v[11:12]
	v_mov_b32_e32 v7, s15
	v_add_co_u32_e32 v11, vcc, s14, v11
	v_addc_co_u32_e32 v12, vcc, v7, v12, vcc
	s_waitcnt lgkmcnt(0)
	global_store_dwordx2 v[11:12], v[16:17], off
	s_branch .LBB14_9
.LBB14_49:
	s_endpgm
	.section	.rodata,"a",@progbits
	.p2align	6, 0x0
	.amdhsa_kernel _ZN9rocsparseL39bsrgeam_block_per_row_multipass_kernel2ILj256ELj16EdEEv20rocsparse_direction_iiiNS_24const_host_device_scalarIT1_EEPKiS6_PKS3_S4_S6_S6_S8_S6_PiPS3_21rocsparse_index_base_SB_SB_b
		.amdhsa_group_segment_fixed_size 2056
		.amdhsa_private_segment_fixed_size 0
		.amdhsa_kernarg_size 120
		.amdhsa_user_sgpr_count 6
		.amdhsa_user_sgpr_private_segment_buffer 1
		.amdhsa_user_sgpr_dispatch_ptr 0
		.amdhsa_user_sgpr_queue_ptr 0
		.amdhsa_user_sgpr_kernarg_segment_ptr 1
		.amdhsa_user_sgpr_dispatch_id 0
		.amdhsa_user_sgpr_flat_scratch_init 0
		.amdhsa_user_sgpr_private_segment_size 0
		.amdhsa_uses_dynamic_stack 0
		.amdhsa_system_sgpr_private_segment_wavefront_offset 0
		.amdhsa_system_sgpr_workgroup_id_x 1
		.amdhsa_system_sgpr_workgroup_id_y 0
		.amdhsa_system_sgpr_workgroup_id_z 0
		.amdhsa_system_sgpr_workgroup_info 0
		.amdhsa_system_vgpr_workitem_id 0
		.amdhsa_next_free_vgpr 20
		.amdhsa_next_free_sgpr 40
		.amdhsa_reserve_vcc 1
		.amdhsa_reserve_flat_scratch 0
		.amdhsa_float_round_mode_32 0
		.amdhsa_float_round_mode_16_64 0
		.amdhsa_float_denorm_mode_32 3
		.amdhsa_float_denorm_mode_16_64 3
		.amdhsa_dx10_clamp 1
		.amdhsa_ieee_mode 1
		.amdhsa_fp16_overflow 0
		.amdhsa_exception_fp_ieee_invalid_op 0
		.amdhsa_exception_fp_denorm_src 0
		.amdhsa_exception_fp_ieee_div_zero 0
		.amdhsa_exception_fp_ieee_overflow 0
		.amdhsa_exception_fp_ieee_underflow 0
		.amdhsa_exception_fp_ieee_inexact 0
		.amdhsa_exception_int_div_zero 0
	.end_amdhsa_kernel
	.section	.text._ZN9rocsparseL39bsrgeam_block_per_row_multipass_kernel2ILj256ELj16EdEEv20rocsparse_direction_iiiNS_24const_host_device_scalarIT1_EEPKiS6_PKS3_S4_S6_S6_S8_S6_PiPS3_21rocsparse_index_base_SB_SB_b,"axG",@progbits,_ZN9rocsparseL39bsrgeam_block_per_row_multipass_kernel2ILj256ELj16EdEEv20rocsparse_direction_iiiNS_24const_host_device_scalarIT1_EEPKiS6_PKS3_S4_S6_S6_S8_S6_PiPS3_21rocsparse_index_base_SB_SB_b,comdat
.Lfunc_end14:
	.size	_ZN9rocsparseL39bsrgeam_block_per_row_multipass_kernel2ILj256ELj16EdEEv20rocsparse_direction_iiiNS_24const_host_device_scalarIT1_EEPKiS6_PKS3_S4_S6_S6_S8_S6_PiPS3_21rocsparse_index_base_SB_SB_b, .Lfunc_end14-_ZN9rocsparseL39bsrgeam_block_per_row_multipass_kernel2ILj256ELj16EdEEv20rocsparse_direction_iiiNS_24const_host_device_scalarIT1_EEPKiS6_PKS3_S4_S6_S6_S8_S6_PiPS3_21rocsparse_index_base_SB_SB_b
                                        ; -- End function
	.set _ZN9rocsparseL39bsrgeam_block_per_row_multipass_kernel2ILj256ELj16EdEEv20rocsparse_direction_iiiNS_24const_host_device_scalarIT1_EEPKiS6_PKS3_S4_S6_S6_S8_S6_PiPS3_21rocsparse_index_base_SB_SB_b.num_vgpr, 20
	.set _ZN9rocsparseL39bsrgeam_block_per_row_multipass_kernel2ILj256ELj16EdEEv20rocsparse_direction_iiiNS_24const_host_device_scalarIT1_EEPKiS6_PKS3_S4_S6_S6_S8_S6_PiPS3_21rocsparse_index_base_SB_SB_b.num_agpr, 0
	.set _ZN9rocsparseL39bsrgeam_block_per_row_multipass_kernel2ILj256ELj16EdEEv20rocsparse_direction_iiiNS_24const_host_device_scalarIT1_EEPKiS6_PKS3_S4_S6_S6_S8_S6_PiPS3_21rocsparse_index_base_SB_SB_b.numbered_sgpr, 40
	.set _ZN9rocsparseL39bsrgeam_block_per_row_multipass_kernel2ILj256ELj16EdEEv20rocsparse_direction_iiiNS_24const_host_device_scalarIT1_EEPKiS6_PKS3_S4_S6_S6_S8_S6_PiPS3_21rocsparse_index_base_SB_SB_b.num_named_barrier, 0
	.set _ZN9rocsparseL39bsrgeam_block_per_row_multipass_kernel2ILj256ELj16EdEEv20rocsparse_direction_iiiNS_24const_host_device_scalarIT1_EEPKiS6_PKS3_S4_S6_S6_S8_S6_PiPS3_21rocsparse_index_base_SB_SB_b.private_seg_size, 0
	.set _ZN9rocsparseL39bsrgeam_block_per_row_multipass_kernel2ILj256ELj16EdEEv20rocsparse_direction_iiiNS_24const_host_device_scalarIT1_EEPKiS6_PKS3_S4_S6_S6_S8_S6_PiPS3_21rocsparse_index_base_SB_SB_b.uses_vcc, 1
	.set _ZN9rocsparseL39bsrgeam_block_per_row_multipass_kernel2ILj256ELj16EdEEv20rocsparse_direction_iiiNS_24const_host_device_scalarIT1_EEPKiS6_PKS3_S4_S6_S6_S8_S6_PiPS3_21rocsparse_index_base_SB_SB_b.uses_flat_scratch, 0
	.set _ZN9rocsparseL39bsrgeam_block_per_row_multipass_kernel2ILj256ELj16EdEEv20rocsparse_direction_iiiNS_24const_host_device_scalarIT1_EEPKiS6_PKS3_S4_S6_S6_S8_S6_PiPS3_21rocsparse_index_base_SB_SB_b.has_dyn_sized_stack, 0
	.set _ZN9rocsparseL39bsrgeam_block_per_row_multipass_kernel2ILj256ELj16EdEEv20rocsparse_direction_iiiNS_24const_host_device_scalarIT1_EEPKiS6_PKS3_S4_S6_S6_S8_S6_PiPS3_21rocsparse_index_base_SB_SB_b.has_recursion, 0
	.set _ZN9rocsparseL39bsrgeam_block_per_row_multipass_kernel2ILj256ELj16EdEEv20rocsparse_direction_iiiNS_24const_host_device_scalarIT1_EEPKiS6_PKS3_S4_S6_S6_S8_S6_PiPS3_21rocsparse_index_base_SB_SB_b.has_indirect_call, 0
	.section	.AMDGPU.csdata,"",@progbits
; Kernel info:
; codeLenInByte = 1392
; TotalNumSgprs: 44
; NumVgprs: 20
; ScratchSize: 0
; MemoryBound: 0
; FloatMode: 240
; IeeeMode: 1
; LDSByteSize: 2056 bytes/workgroup (compile time only)
; SGPRBlocks: 5
; VGPRBlocks: 4
; NumSGPRsForWavesPerEU: 44
; NumVGPRsForWavesPerEU: 20
; Occupancy: 10
; WaveLimiterHint : 1
; COMPUTE_PGM_RSRC2:SCRATCH_EN: 0
; COMPUTE_PGM_RSRC2:USER_SGPR: 6
; COMPUTE_PGM_RSRC2:TRAP_HANDLER: 0
; COMPUTE_PGM_RSRC2:TGID_X_EN: 1
; COMPUTE_PGM_RSRC2:TGID_Y_EN: 0
; COMPUTE_PGM_RSRC2:TGID_Z_EN: 0
; COMPUTE_PGM_RSRC2:TIDIG_COMP_CNT: 0
	.section	.text._ZN9rocsparseL39bsrgeam_block_per_row_multipass_kernel2ILj256ELj32EdEEv20rocsparse_direction_iiiNS_24const_host_device_scalarIT1_EEPKiS6_PKS3_S4_S6_S6_S8_S6_PiPS3_21rocsparse_index_base_SB_SB_b,"axG",@progbits,_ZN9rocsparseL39bsrgeam_block_per_row_multipass_kernel2ILj256ELj32EdEEv20rocsparse_direction_iiiNS_24const_host_device_scalarIT1_EEPKiS6_PKS3_S4_S6_S6_S8_S6_PiPS3_21rocsparse_index_base_SB_SB_b,comdat
	.globl	_ZN9rocsparseL39bsrgeam_block_per_row_multipass_kernel2ILj256ELj32EdEEv20rocsparse_direction_iiiNS_24const_host_device_scalarIT1_EEPKiS6_PKS3_S4_S6_S6_S8_S6_PiPS3_21rocsparse_index_base_SB_SB_b ; -- Begin function _ZN9rocsparseL39bsrgeam_block_per_row_multipass_kernel2ILj256ELj32EdEEv20rocsparse_direction_iiiNS_24const_host_device_scalarIT1_EEPKiS6_PKS3_S4_S6_S6_S8_S6_PiPS3_21rocsparse_index_base_SB_SB_b
	.p2align	8
	.type	_ZN9rocsparseL39bsrgeam_block_per_row_multipass_kernel2ILj256ELj32EdEEv20rocsparse_direction_iiiNS_24const_host_device_scalarIT1_EEPKiS6_PKS3_S4_S6_S6_S8_S6_PiPS3_21rocsparse_index_base_SB_SB_b,@function
_ZN9rocsparseL39bsrgeam_block_per_row_multipass_kernel2ILj256ELj32EdEEv20rocsparse_direction_iiiNS_24const_host_device_scalarIT1_EEPKiS6_PKS3_S4_S6_S6_S8_S6_PiPS3_21rocsparse_index_base_SB_SB_b: ; @_ZN9rocsparseL39bsrgeam_block_per_row_multipass_kernel2ILj256ELj32EdEEv20rocsparse_direction_iiiNS_24const_host_device_scalarIT1_EEPKiS6_PKS3_S4_S6_S6_S8_S6_PiPS3_21rocsparse_index_base_SB_SB_b
; %bb.0:
	s_load_dwordx4 s[8:11], s[4:5], 0x68
	s_load_dwordx2 s[22:23], s[4:5], 0x50
	s_load_dwordx4 s[12:15], s[4:5], 0x10
	s_load_dwordx4 s[0:3], s[4:5], 0x30
	s_waitcnt lgkmcnt(0)
	s_bitcmp1_b32 s11, 0
	s_cselect_b64 s[16:17], -1, 0
	v_mov_b32_e32 v1, s12
	s_xor_b64 s[18:19], s[16:17], -1
	s_and_b64 vcc, exec, s[16:17]
	v_mov_b32_e32 v2, s13
	s_cbranch_vccnz .LBB15_2
; %bb.1:
	v_mov_b32_e32 v1, s12
	v_mov_b32_e32 v2, s13
	flat_load_dwordx2 v[1:2], v[1:2]
.LBB15_2:
	s_load_dwordx2 s[16:17], s[4:5], 0x20
	v_mov_b32_e32 v4, s1
	s_andn2_b64 vcc, exec, s[18:19]
	v_mov_b32_e32 v3, s0
	s_cbranch_vccnz .LBB15_4
; %bb.3:
	v_mov_b32_e32 v4, s1
	v_mov_b32_e32 v3, s0
	flat_load_dwordx2 v[3:4], v[3:4]
.LBB15_4:
	s_ashr_i32 s7, s6, 31
	s_lshl_b64 s[12:13], s[6:7], 2
	s_add_u32 s14, s14, s12
	s_addc_u32 s15, s15, s13
	s_load_dwordx2 s[0:1], s[14:15], 0x0
	s_load_dwordx2 s[6:7], s[4:5], 0x40
	;; [unrolled: 1-line block ×3, first 2 shown]
	s_waitcnt lgkmcnt(0)
	s_sub_i32 s20, s0, s8
	s_add_u32 s2, s2, s12
	s_addc_u32 s3, s3, s13
	s_load_dwordx2 s[26:27], s[2:3], 0x0
	s_add_u32 s24, s22, s12
	s_addc_u32 s25, s23, s13
	s_cmp_ge_i32 s0, s1
	s_mov_b32 s0, s18
	s_cbranch_scc1 .LBB15_6
; %bb.5:
	s_ashr_i32 s21, s20, 31
	s_lshl_b64 s[2:3], s[20:21], 2
	s_add_u32 s2, s16, s2
	s_addc_u32 s3, s17, s3
	s_load_dword s0, s[2:3], 0x0
	s_waitcnt lgkmcnt(0)
	s_sub_i32 s0, s0, s8
.LBB15_6:
	s_load_dwordx4 s[12:15], s[4:5], 0x58
	s_load_dwordx2 s[2:3], s[4:5], 0x28
	s_load_dwordx2 s[22:23], s[4:5], 0x48
	s_load_dword s21, s[24:25], 0x0
	s_waitcnt lgkmcnt(0)
	s_sub_i32 s24, s26, s9
	s_cmp_ge_i32 s26, s27
	s_mov_b32 s25, s18
	s_cbranch_scc1 .LBB15_8
; %bb.7:
	s_ashr_i32 s25, s24, 31
	s_lshl_b64 s[28:29], s[24:25], 2
	s_add_u32 s28, s6, s28
	s_addc_u32 s29, s7, s29
	s_load_dword s11, s[28:29], 0x0
	s_waitcnt lgkmcnt(0)
	s_sub_i32 s25, s11, s9
.LBB15_8:
	s_sub_i32 s11, s1, s8
	s_load_dword s1, s[4:5], 0x0
	v_and_b32_e32 v5, 7, v0
	v_lshrrev_b32_e32 v0, 3, v0
	s_sub_i32 s33, s27, s9
	s_sub_i32 s26, s21, s10
	s_min_i32 s27, s25, s0
	v_lshlrev_b32_e32 v6, 8, v0
	s_movk_i32 s0, 0xff08
	v_lshl_or_b32 v16, v5, 3, v6
	v_cmp_gt_i32_e32 vcc, s19, v0
	v_mad_i32_i24 v6, v0, s0, v6
	s_waitcnt lgkmcnt(0)
	s_cmp_lg_u32 s1, 0
	v_cmp_gt_u32_e64 s[0:1], s19, v5
	v_or_b32_e32 v21, 8, v5
	s_cselect_b64 s[4:5], -1, 0
	s_and_b64 s[28:29], vcc, s[0:1]
	v_cmp_gt_u32_e64 s[0:1], s19, v21
	v_or_b32_e32 v23, 16, v5
	s_mov_b32 s38, 0
	s_and_b64 s[30:31], vcc, s[0:1]
	v_cmp_gt_u32_e64 s[0:1], s19, v23
	v_or_b32_e32 v25, 24, v5
	v_lshl_add_u32 v20, v5, 8, v6
	v_lshl_add_u32 v22, v21, 8, v6
	s_and_b64 s[34:35], vcc, s[0:1]
	v_lshl_add_u32 v24, v23, 8, v6
	v_cmp_gt_u32_e64 s[0:1], s19, v25
	v_lshl_add_u32 v26, v25, 8, v6
	s_mov_b32 s39, s38
	v_mov_b32_e32 v8, s38
	v_cndmask_b32_e64 v6, 0, 1, s[4:5]
	v_or_b32_e32 v17, 64, v16
	v_or_b32_e32 v18, 0x80, v16
	;; [unrolled: 1-line block ×3, first 2 shown]
	s_and_b64 s[36:37], vcc, s[0:1]
	s_mul_i32 s46, s19, s19
	v_mov_b32_e32 v7, 0
	v_mov_b32_e32 v9, s39
	;; [unrolled: 1-line block ×3, first 2 shown]
	v_cmp_ne_u32_e64 s[0:1], 1, v6
	s_branch .LBB15_12
.LBB15_9:                               ;   in Loop: Header=BB15_12 Depth=1
	ds_read_b64 v[10:11], v11
	v_lshlrev_b64 v[12:13], 3, v[6:7]
	v_mov_b32_e32 v6, s15
	v_add_co_u32_e32 v12, vcc, s14, v12
	v_addc_co_u32_e32 v13, vcc, v6, v13, vcc
	s_waitcnt lgkmcnt(0)
	global_store_dwordx2 v[12:13], v[10:11], off
.LBB15_10:                              ;   in Loop: Header=BB15_12 Depth=1
	s_or_b64 exec, exec, s[38:39]
.LBB15_11:                              ;   in Loop: Header=BB15_12 Depth=1
	s_waitcnt vmcnt(0)
	s_barrier
	ds_read_b32 v6, v7 offset:8192
	s_mov_b32 s27, s25
	s_waitcnt lgkmcnt(0)
	s_barrier
	v_readfirstlane_b32 s21, v6
	s_add_i32 s26, s21, s26
	s_cmp_lt_i32 s25, s18
	s_cbranch_scc0 .LBB15_98
.LBB15_12:                              ; =>This Loop Header: Depth=1
                                        ;     Child Loop BB15_14 Depth 2
                                        ;     Child Loop BB15_45 Depth 2
	s_cmp_ge_i32 s20, s11
	ds_write_b32 v7, v7 offset:8192
	ds_write2_b64 v16, v[8:9], v[8:9] offset1:8
	ds_write2_b64 v16, v[8:9], v[8:9] offset0:16 offset1:24
	s_waitcnt vmcnt(0) lgkmcnt(0)
	s_barrier
	s_cbranch_scc1 .LBB15_42
; %bb.13:                               ;   in Loop: Header=BB15_12 Depth=1
	s_mul_i32 s21, s19, s20
	v_add_u32_e32 v6, s21, v5
	v_mad_u64_u32 v[10:11], s[38:39], s19, v6, v[0:1]
	v_add_u32_e32 v6, s21, v21
	v_mad_u64_u32 v[11:12], s[38:39], s19, v6, v[0:1]
	v_add_u32_e32 v6, s21, v23
	v_mad_u64_u32 v[12:13], s[38:39], s19, v6, v[0:1]
	v_add_u32_e32 v6, s21, v25
	v_mad_u64_u32 v[13:14], s[38:39], s19, v6, v[0:1]
	v_add_u32_e32 v6, s21, v0
	v_mad_u64_u32 v[14:15], s[38:39], s19, v6, v[5:6]
	s_ashr_i32 s21, s20, 31
	s_lshl_b64 s[38:39], s[20:21], 2
	s_add_u32 s38, s16, s38
	s_addc_u32 s39, s17, s39
	s_mov_b32 s25, 0
	s_mov_b32 s47, s18
.LBB15_14:                              ;   Parent Loop BB15_12 Depth=1
                                        ; =>  This Inner Loop Header: Depth=2
	s_load_dword s21, s[38:39], 0x0
	s_mov_b64 s[42:43], -1
	s_waitcnt lgkmcnt(0)
	s_sub_i32 s44, s21, s8
	s_cmp_eq_u32 s44, s27
	s_cselect_b64 s[40:41], -1, 0
	s_cmp_lg_u32 s44, s27
                                        ; implicit-def: $sgpr21
	s_cbranch_scc1 .LBB15_18
; %bb.15:                               ;   in Loop: Header=BB15_14 Depth=2
	s_andn2_b64 vcc, exec, s[42:43]
	s_cbranch_vccz .LBB15_19
.LBB15_16:                              ;   in Loop: Header=BB15_14 Depth=2
	s_andn2_b64 vcc, exec, s[40:41]
	s_mov_b64 s[40:41], -1
	s_cbranch_vccnz .LBB15_36
.LBB15_17:                              ;   in Loop: Header=BB15_14 Depth=2
	s_add_i32 s20, s20, 1
	s_add_i32 s25, s25, s46
	s_add_u32 s38, s38, 4
	s_addc_u32 s39, s39, 0
	s_cmp_ge_i32 s20, s11
	s_cselect_b64 s[40:41], -1, 0
	s_andn2_b64 vcc, exec, s[40:41]
	s_cbranch_vccnz .LBB15_37
	s_branch .LBB15_43
.LBB15_18:                              ;   in Loop: Header=BB15_14 Depth=2
	s_min_i32 s21, s44, s47
	s_cbranch_execnz .LBB15_16
.LBB15_19:                              ;   in Loop: Header=BB15_14 Depth=2
	ds_write_b32 v7, v27 offset:8192
	s_and_saveexec_b64 s[42:43], s[28:29]
	s_cbranch_execz .LBB15_23
; %bb.20:                               ;   in Loop: Header=BB15_14 Depth=2
	s_and_b64 vcc, exec, s[4:5]
	s_cbranch_vccz .LBB15_38
; %bb.21:                               ;   in Loop: Header=BB15_14 Depth=2
	v_add_u32_e32 v6, s25, v10
	v_lshlrev_b64 v[28:29], 3, v[6:7]
	v_mov_b32_e32 v6, s3
	v_add_co_u32_e32 v28, vcc, s2, v28
	v_addc_co_u32_e32 v29, vcc, v6, v29, vcc
	global_load_dwordx2 v[28:29], v[28:29], off
	s_waitcnt vmcnt(0)
	v_mul_f64 v[28:29], v[1:2], v[28:29]
	ds_write_b64 v20, v[28:29]
	s_cbranch_execnz .LBB15_23
.LBB15_22:                              ;   in Loop: Header=BB15_14 Depth=2
	v_add_u32_e32 v6, s25, v14
	v_lshlrev_b64 v[28:29], 3, v[6:7]
	v_mov_b32_e32 v6, s3
	v_add_co_u32_e32 v28, vcc, s2, v28
	v_addc_co_u32_e32 v29, vcc, v6, v29, vcc
	global_load_dwordx2 v[28:29], v[28:29], off
	s_waitcnt vmcnt(0)
	v_mul_f64 v[28:29], v[1:2], v[28:29]
	ds_write_b64 v16, v[28:29]
.LBB15_23:                              ;   in Loop: Header=BB15_14 Depth=2
	s_or_b64 exec, exec, s[42:43]
	s_and_saveexec_b64 s[42:43], s[30:31]
	s_cbranch_execz .LBB15_27
; %bb.24:                               ;   in Loop: Header=BB15_14 Depth=2
	s_and_b64 vcc, exec, s[0:1]
	s_cbranch_vccnz .LBB15_39
; %bb.25:                               ;   in Loop: Header=BB15_14 Depth=2
	v_add_u32_e32 v6, s25, v11
	v_lshlrev_b64 v[28:29], 3, v[6:7]
	v_mov_b32_e32 v6, s3
	v_add_co_u32_e32 v28, vcc, s2, v28
	v_addc_co_u32_e32 v29, vcc, v6, v29, vcc
	global_load_dwordx2 v[28:29], v[28:29], off
	s_waitcnt vmcnt(0)
	v_mul_f64 v[28:29], v[1:2], v[28:29]
	ds_write_b64 v22, v[28:29]
	s_cbranch_execnz .LBB15_27
.LBB15_26:                              ;   in Loop: Header=BB15_14 Depth=2
	v_add3_u32 v6, v14, s25, 8
	v_lshlrev_b64 v[28:29], 3, v[6:7]
	v_mov_b32_e32 v6, s3
	v_add_co_u32_e32 v28, vcc, s2, v28
	v_addc_co_u32_e32 v29, vcc, v6, v29, vcc
	global_load_dwordx2 v[28:29], v[28:29], off
	s_waitcnt vmcnt(0)
	v_mul_f64 v[28:29], v[1:2], v[28:29]
	ds_write_b64 v17, v[28:29]
.LBB15_27:                              ;   in Loop: Header=BB15_14 Depth=2
	s_or_b64 exec, exec, s[42:43]
	s_and_saveexec_b64 s[42:43], s[34:35]
	s_cbranch_execz .LBB15_31
; %bb.28:                               ;   in Loop: Header=BB15_14 Depth=2
	s_and_b64 vcc, exec, s[0:1]
	s_cbranch_vccnz .LBB15_40
; %bb.29:                               ;   in Loop: Header=BB15_14 Depth=2
	v_add_u32_e32 v6, s25, v12
	v_lshlrev_b64 v[28:29], 3, v[6:7]
	v_mov_b32_e32 v6, s3
	v_add_co_u32_e32 v28, vcc, s2, v28
	v_addc_co_u32_e32 v29, vcc, v6, v29, vcc
	global_load_dwordx2 v[28:29], v[28:29], off
	s_waitcnt vmcnt(0)
	v_mul_f64 v[28:29], v[1:2], v[28:29]
	ds_write_b64 v24, v[28:29]
	s_cbranch_execnz .LBB15_31
.LBB15_30:                              ;   in Loop: Header=BB15_14 Depth=2
	v_add3_u32 v6, v14, s25, 16
	v_lshlrev_b64 v[28:29], 3, v[6:7]
	v_mov_b32_e32 v6, s3
	v_add_co_u32_e32 v28, vcc, s2, v28
	v_addc_co_u32_e32 v29, vcc, v6, v29, vcc
	global_load_dwordx2 v[28:29], v[28:29], off
	s_waitcnt vmcnt(0)
	v_mul_f64 v[28:29], v[1:2], v[28:29]
	ds_write_b64 v18, v[28:29]
.LBB15_31:                              ;   in Loop: Header=BB15_14 Depth=2
	s_or_b64 exec, exec, s[42:43]
	s_and_saveexec_b64 s[42:43], s[36:37]
	s_cbranch_execz .LBB15_35
; %bb.32:                               ;   in Loop: Header=BB15_14 Depth=2
	s_and_b64 vcc, exec, s[0:1]
	s_cbranch_vccnz .LBB15_41
; %bb.33:                               ;   in Loop: Header=BB15_14 Depth=2
	v_add_u32_e32 v6, s25, v13
	v_lshlrev_b64 v[28:29], 3, v[6:7]
	v_mov_b32_e32 v6, s3
	v_add_co_u32_e32 v28, vcc, s2, v28
	v_addc_co_u32_e32 v29, vcc, v6, v29, vcc
	global_load_dwordx2 v[28:29], v[28:29], off
	s_waitcnt vmcnt(0)
	v_mul_f64 v[28:29], v[1:2], v[28:29]
	ds_write_b64 v26, v[28:29]
	s_cbranch_execnz .LBB15_35
.LBB15_34:                              ;   in Loop: Header=BB15_14 Depth=2
	v_add3_u32 v6, v14, s25, 24
	v_lshlrev_b64 v[28:29], 3, v[6:7]
	v_mov_b32_e32 v6, s3
	v_add_co_u32_e32 v28, vcc, s2, v28
	v_addc_co_u32_e32 v29, vcc, v6, v29, vcc
	global_load_dwordx2 v[28:29], v[28:29], off
	s_waitcnt vmcnt(0)
	v_mul_f64 v[28:29], v[1:2], v[28:29]
	ds_write_b64 v19, v[28:29]
.LBB15_35:                              ;   in Loop: Header=BB15_14 Depth=2
	s_or_b64 exec, exec, s[42:43]
	s_mov_b32 s21, s47
	s_andn2_b64 vcc, exec, s[40:41]
	s_mov_b64 s[40:41], -1
	s_cbranch_vccz .LBB15_17
.LBB15_36:                              ;   in Loop: Header=BB15_14 Depth=2
                                        ; implicit-def: $sgpr25
                                        ; implicit-def: $sgpr38_sgpr39
	s_andn2_b64 vcc, exec, s[40:41]
	s_cbranch_vccz .LBB15_43
.LBB15_37:                              ;   in Loop: Header=BB15_14 Depth=2
	s_mov_b32 s47, s21
	s_branch .LBB15_14
.LBB15_38:                              ;   in Loop: Header=BB15_14 Depth=2
	s_branch .LBB15_22
.LBB15_39:                              ;   in Loop: Header=BB15_14 Depth=2
	s_branch .LBB15_26
.LBB15_40:                              ;   in Loop: Header=BB15_14 Depth=2
	s_branch .LBB15_30
.LBB15_41:                              ;   in Loop: Header=BB15_14 Depth=2
	s_branch .LBB15_34
.LBB15_42:                              ;   in Loop: Header=BB15_12 Depth=1
	s_mov_b32 s21, s18
.LBB15_43:                              ;   in Loop: Header=BB15_12 Depth=1
	s_cmp_ge_i32 s24, s33
	s_waitcnt lgkmcnt(0)
	s_barrier
	s_cbranch_scc1 .LBB15_73
; %bb.44:                               ;   in Loop: Header=BB15_12 Depth=1
	s_mul_i32 s25, s19, s24
	v_add_u32_e32 v6, s25, v5
	v_mad_u64_u32 v[10:11], s[38:39], s19, v6, v[0:1]
	v_add_u32_e32 v6, s25, v21
	v_mad_u64_u32 v[11:12], s[38:39], s19, v6, v[0:1]
	;; [unrolled: 2-line block ×5, first 2 shown]
	s_ashr_i32 s25, s24, 31
	s_lshl_b64 s[38:39], s[24:25], 2
	s_add_u32 s38, s6, s38
	s_addc_u32 s39, s7, s39
	s_mov_b32 s47, 0
.LBB15_45:                              ;   Parent Loop BB15_12 Depth=1
                                        ; =>  This Inner Loop Header: Depth=2
	s_load_dword s25, s[38:39], 0x0
	s_mov_b64 s[42:43], -1
	s_waitcnt lgkmcnt(0)
	s_sub_i32 s44, s25, s9
	s_cmp_eq_u32 s44, s27
	s_cselect_b64 s[40:41], -1, 0
	s_cmp_lg_u32 s44, s27
                                        ; implicit-def: $sgpr25
	s_cbranch_scc1 .LBB15_49
; %bb.46:                               ;   in Loop: Header=BB15_45 Depth=2
	s_andn2_b64 vcc, exec, s[42:43]
	s_cbranch_vccz .LBB15_50
.LBB15_47:                              ;   in Loop: Header=BB15_45 Depth=2
	s_andn2_b64 vcc, exec, s[40:41]
	s_mov_b64 s[40:41], -1
	s_cbranch_vccnz .LBB15_67
.LBB15_48:                              ;   in Loop: Header=BB15_45 Depth=2
	s_add_i32 s24, s24, 1
	s_add_i32 s47, s47, s46
	s_add_u32 s38, s38, 4
	s_addc_u32 s39, s39, 0
	s_cmp_ge_i32 s24, s33
	s_cselect_b64 s[40:41], -1, 0
	s_andn2_b64 vcc, exec, s[40:41]
	s_cbranch_vccnz .LBB15_68
	s_branch .LBB15_74
.LBB15_49:                              ;   in Loop: Header=BB15_45 Depth=2
	s_min_i32 s25, s44, s21
	s_cbranch_execnz .LBB15_47
.LBB15_50:                              ;   in Loop: Header=BB15_45 Depth=2
	ds_write_b32 v7, v27 offset:8192
	s_and_saveexec_b64 s[42:43], s[28:29]
	s_cbranch_execz .LBB15_54
; %bb.51:                               ;   in Loop: Header=BB15_45 Depth=2
	s_and_b64 vcc, exec, s[4:5]
	s_cbranch_vccz .LBB15_69
; %bb.52:                               ;   in Loop: Header=BB15_45 Depth=2
	v_add_u32_e32 v6, s47, v10
	v_lshlrev_b64 v[28:29], 3, v[6:7]
	v_mov_b32_e32 v6, s23
	v_add_co_u32_e32 v28, vcc, s22, v28
	v_addc_co_u32_e32 v29, vcc, v6, v29, vcc
	global_load_dwordx2 v[28:29], v[28:29], off
	ds_read_b64 v[30:31], v20
	s_waitcnt vmcnt(0) lgkmcnt(0)
	v_fma_f64 v[28:29], v[3:4], v[28:29], v[30:31]
	ds_write_b64 v20, v[28:29]
	s_cbranch_execnz .LBB15_54
.LBB15_53:                              ;   in Loop: Header=BB15_45 Depth=2
	v_add_u32_e32 v6, s47, v14
	v_lshlrev_b64 v[28:29], 3, v[6:7]
	v_mov_b32_e32 v6, s23
	v_add_co_u32_e32 v28, vcc, s22, v28
	v_addc_co_u32_e32 v29, vcc, v6, v29, vcc
	global_load_dwordx2 v[28:29], v[28:29], off
	ds_read_b64 v[30:31], v16
	s_waitcnt vmcnt(0) lgkmcnt(0)
	v_fma_f64 v[28:29], v[3:4], v[28:29], v[30:31]
	ds_write_b64 v16, v[28:29]
.LBB15_54:                              ;   in Loop: Header=BB15_45 Depth=2
	s_or_b64 exec, exec, s[42:43]
	s_and_saveexec_b64 s[42:43], s[30:31]
	s_cbranch_execz .LBB15_58
; %bb.55:                               ;   in Loop: Header=BB15_45 Depth=2
	s_and_b64 vcc, exec, s[0:1]
	s_cbranch_vccnz .LBB15_70
; %bb.56:                               ;   in Loop: Header=BB15_45 Depth=2
	v_add_u32_e32 v6, s47, v11
	v_lshlrev_b64 v[28:29], 3, v[6:7]
	v_mov_b32_e32 v6, s23
	v_add_co_u32_e32 v28, vcc, s22, v28
	v_addc_co_u32_e32 v29, vcc, v6, v29, vcc
	global_load_dwordx2 v[28:29], v[28:29], off
	ds_read_b64 v[30:31], v22
	s_waitcnt vmcnt(0) lgkmcnt(0)
	v_fma_f64 v[28:29], v[3:4], v[28:29], v[30:31]
	ds_write_b64 v22, v[28:29]
	s_cbranch_execnz .LBB15_58
.LBB15_57:                              ;   in Loop: Header=BB15_45 Depth=2
	v_add3_u32 v6, v14, s47, 8
	v_lshlrev_b64 v[28:29], 3, v[6:7]
	v_mov_b32_e32 v6, s23
	v_add_co_u32_e32 v28, vcc, s22, v28
	v_addc_co_u32_e32 v29, vcc, v6, v29, vcc
	global_load_dwordx2 v[28:29], v[28:29], off
	ds_read_b64 v[30:31], v17
	s_waitcnt vmcnt(0) lgkmcnt(0)
	v_fma_f64 v[28:29], v[3:4], v[28:29], v[30:31]
	ds_write_b64 v17, v[28:29]
.LBB15_58:                              ;   in Loop: Header=BB15_45 Depth=2
	s_or_b64 exec, exec, s[42:43]
	s_and_saveexec_b64 s[42:43], s[34:35]
	s_cbranch_execz .LBB15_62
; %bb.59:                               ;   in Loop: Header=BB15_45 Depth=2
	s_and_b64 vcc, exec, s[0:1]
	s_cbranch_vccnz .LBB15_71
; %bb.60:                               ;   in Loop: Header=BB15_45 Depth=2
	v_add_u32_e32 v6, s47, v12
	v_lshlrev_b64 v[28:29], 3, v[6:7]
	v_mov_b32_e32 v6, s23
	v_add_co_u32_e32 v28, vcc, s22, v28
	v_addc_co_u32_e32 v29, vcc, v6, v29, vcc
	global_load_dwordx2 v[28:29], v[28:29], off
	ds_read_b64 v[30:31], v24
	s_waitcnt vmcnt(0) lgkmcnt(0)
	v_fma_f64 v[28:29], v[3:4], v[28:29], v[30:31]
	ds_write_b64 v24, v[28:29]
	s_cbranch_execnz .LBB15_62
.LBB15_61:                              ;   in Loop: Header=BB15_45 Depth=2
	v_add3_u32 v6, v14, s47, 16
	v_lshlrev_b64 v[28:29], 3, v[6:7]
	v_mov_b32_e32 v6, s23
	v_add_co_u32_e32 v28, vcc, s22, v28
	v_addc_co_u32_e32 v29, vcc, v6, v29, vcc
	global_load_dwordx2 v[28:29], v[28:29], off
	ds_read_b64 v[30:31], v18
	s_waitcnt vmcnt(0) lgkmcnt(0)
	v_fma_f64 v[28:29], v[3:4], v[28:29], v[30:31]
	ds_write_b64 v18, v[28:29]
.LBB15_62:                              ;   in Loop: Header=BB15_45 Depth=2
	s_or_b64 exec, exec, s[42:43]
	s_and_saveexec_b64 s[42:43], s[36:37]
	s_cbranch_execz .LBB15_66
; %bb.63:                               ;   in Loop: Header=BB15_45 Depth=2
	s_and_b64 vcc, exec, s[0:1]
	s_cbranch_vccnz .LBB15_72
; %bb.64:                               ;   in Loop: Header=BB15_45 Depth=2
	v_add_u32_e32 v6, s47, v13
	v_lshlrev_b64 v[28:29], 3, v[6:7]
	v_mov_b32_e32 v6, s23
	v_add_co_u32_e32 v28, vcc, s22, v28
	v_addc_co_u32_e32 v29, vcc, v6, v29, vcc
	global_load_dwordx2 v[28:29], v[28:29], off
	ds_read_b64 v[30:31], v26
	s_waitcnt vmcnt(0) lgkmcnt(0)
	v_fma_f64 v[28:29], v[3:4], v[28:29], v[30:31]
	ds_write_b64 v26, v[28:29]
	s_cbranch_execnz .LBB15_66
.LBB15_65:                              ;   in Loop: Header=BB15_45 Depth=2
	v_add3_u32 v6, v14, s47, 24
	v_lshlrev_b64 v[28:29], 3, v[6:7]
	v_mov_b32_e32 v6, s23
	v_add_co_u32_e32 v28, vcc, s22, v28
	v_addc_co_u32_e32 v29, vcc, v6, v29, vcc
	global_load_dwordx2 v[28:29], v[28:29], off
	ds_read_b64 v[30:31], v19
	s_waitcnt vmcnt(0) lgkmcnt(0)
	v_fma_f64 v[28:29], v[3:4], v[28:29], v[30:31]
	ds_write_b64 v19, v[28:29]
.LBB15_66:                              ;   in Loop: Header=BB15_45 Depth=2
	s_or_b64 exec, exec, s[42:43]
	s_mov_b32 s25, s21
	s_andn2_b64 vcc, exec, s[40:41]
	s_mov_b64 s[40:41], -1
	s_cbranch_vccz .LBB15_48
.LBB15_67:                              ;   in Loop: Header=BB15_45 Depth=2
                                        ; implicit-def: $sgpr47
                                        ; implicit-def: $sgpr38_sgpr39
	s_andn2_b64 vcc, exec, s[40:41]
	s_cbranch_vccz .LBB15_74
.LBB15_68:                              ;   in Loop: Header=BB15_45 Depth=2
	s_mov_b32 s21, s25
	s_branch .LBB15_45
.LBB15_69:                              ;   in Loop: Header=BB15_45 Depth=2
	s_branch .LBB15_53
.LBB15_70:                              ;   in Loop: Header=BB15_45 Depth=2
	s_branch .LBB15_57
.LBB15_71:                              ;   in Loop: Header=BB15_45 Depth=2
	s_branch .LBB15_61
.LBB15_72:                              ;   in Loop: Header=BB15_45 Depth=2
	s_branch .LBB15_65
.LBB15_73:                              ;   in Loop: Header=BB15_12 Depth=1
	s_mov_b32 s25, s21
.LBB15_74:                              ;   in Loop: Header=BB15_12 Depth=1
	s_waitcnt lgkmcnt(0)
	s_barrier
	ds_read_b32 v6, v7 offset:8192
	s_waitcnt lgkmcnt(0)
	v_cmp_eq_u32_e32 vcc, 0, v6
	s_cbranch_vccnz .LBB15_11
; %bb.75:                               ;   in Loop: Header=BB15_12 Depth=1
	s_mul_i32 s21, s26, s19
	v_add_u32_e32 v6, s21, v0
	s_add_i32 s40, s27, s10
	s_ashr_i32 s27, s26, 31
	v_mul_lo_u32 v10, v6, s19
	s_lshl_b64 s[38:39], s[26:27], 2
	s_add_u32 s38, s12, s38
	s_addc_u32 s39, s13, s39
	v_mov_b32_e32 v6, s40
	global_store_dword v7, v6, s[38:39]
	s_and_saveexec_b64 s[38:39], s[28:29]
	s_cbranch_execnz .LBB15_79
; %bb.76:                               ;   in Loop: Header=BB15_12 Depth=1
	s_or_b64 exec, exec, s[38:39]
	s_and_saveexec_b64 s[38:39], s[30:31]
	s_cbranch_execnz .LBB15_83
.LBB15_77:                              ;   in Loop: Header=BB15_12 Depth=1
	s_or_b64 exec, exec, s[38:39]
	s_and_saveexec_b64 s[38:39], s[34:35]
	s_cbranch_execnz .LBB15_87
.LBB15_78:                              ;   in Loop: Header=BB15_12 Depth=1
	s_or_b64 exec, exec, s[38:39]
	s_and_saveexec_b64 s[38:39], s[36:37]
	s_cbranch_execz .LBB15_10
	s_branch .LBB15_91
.LBB15_79:                              ;   in Loop: Header=BB15_12 Depth=1
	s_and_b64 vcc, exec, s[4:5]
	s_cbranch_vccz .LBB15_93
; %bb.80:                               ;   in Loop: Header=BB15_12 Depth=1
	v_add_u32_e32 v6, s21, v5
	v_mad_u64_u32 v[11:12], s[40:41], v6, s19, v[0:1]
	v_mov_b32_e32 v6, v11
	v_mov_b32_e32 v11, v20
	s_cbranch_execnz .LBB15_82
.LBB15_81:                              ;   in Loop: Header=BB15_12 Depth=1
	v_add_u32_e32 v6, v10, v5
	v_mov_b32_e32 v11, v16
.LBB15_82:                              ;   in Loop: Header=BB15_12 Depth=1
	ds_read_b64 v[11:12], v11
	v_lshlrev_b64 v[13:14], 3, v[6:7]
	v_mov_b32_e32 v6, s15
	v_add_co_u32_e32 v13, vcc, s14, v13
	v_addc_co_u32_e32 v14, vcc, v6, v14, vcc
	s_waitcnt lgkmcnt(0)
	global_store_dwordx2 v[13:14], v[11:12], off
	s_or_b64 exec, exec, s[38:39]
	s_and_saveexec_b64 s[38:39], s[30:31]
	s_cbranch_execz .LBB15_77
.LBB15_83:                              ;   in Loop: Header=BB15_12 Depth=1
	s_and_b64 vcc, exec, s[0:1]
	s_cbranch_vccnz .LBB15_94
; %bb.84:                               ;   in Loop: Header=BB15_12 Depth=1
	v_add_u32_e32 v6, s21, v21
	v_mad_u64_u32 v[11:12], s[40:41], v6, s19, v[0:1]
	v_mov_b32_e32 v6, v11
	v_mov_b32_e32 v11, v22
	s_cbranch_execnz .LBB15_86
.LBB15_85:                              ;   in Loop: Header=BB15_12 Depth=1
	v_add_u32_e32 v6, v10, v21
	v_mov_b32_e32 v11, v17
.LBB15_86:                              ;   in Loop: Header=BB15_12 Depth=1
	ds_read_b64 v[11:12], v11
	v_lshlrev_b64 v[13:14], 3, v[6:7]
	v_mov_b32_e32 v6, s15
	v_add_co_u32_e32 v13, vcc, s14, v13
	v_addc_co_u32_e32 v14, vcc, v6, v14, vcc
	s_waitcnt lgkmcnt(0)
	global_store_dwordx2 v[13:14], v[11:12], off
	s_or_b64 exec, exec, s[38:39]
	s_and_saveexec_b64 s[38:39], s[34:35]
	s_cbranch_execz .LBB15_78
.LBB15_87:                              ;   in Loop: Header=BB15_12 Depth=1
	s_and_b64 vcc, exec, s[0:1]
	s_cbranch_vccnz .LBB15_95
; %bb.88:                               ;   in Loop: Header=BB15_12 Depth=1
	v_add_u32_e32 v6, s21, v23
	v_mad_u64_u32 v[11:12], s[40:41], v6, s19, v[0:1]
	v_mov_b32_e32 v6, v11
	v_mov_b32_e32 v11, v24
	s_cbranch_execnz .LBB15_90
.LBB15_89:                              ;   in Loop: Header=BB15_12 Depth=1
	v_add_u32_e32 v6, v10, v23
	v_mov_b32_e32 v11, v18
.LBB15_90:                              ;   in Loop: Header=BB15_12 Depth=1
	ds_read_b64 v[11:12], v11
	v_lshlrev_b64 v[13:14], 3, v[6:7]
	v_mov_b32_e32 v6, s15
	v_add_co_u32_e32 v13, vcc, s14, v13
	v_addc_co_u32_e32 v14, vcc, v6, v14, vcc
	s_waitcnt lgkmcnt(0)
	global_store_dwordx2 v[13:14], v[11:12], off
	s_or_b64 exec, exec, s[38:39]
	s_and_saveexec_b64 s[38:39], s[36:37]
	s_cbranch_execz .LBB15_10
.LBB15_91:                              ;   in Loop: Header=BB15_12 Depth=1
	s_and_b64 vcc, exec, s[0:1]
	s_cbranch_vccnz .LBB15_96
; %bb.92:                               ;   in Loop: Header=BB15_12 Depth=1
	v_add_u32_e32 v6, s21, v25
	v_mad_u64_u32 v[11:12], s[40:41], v6, s19, v[0:1]
	v_mov_b32_e32 v6, v11
	v_mov_b32_e32 v11, v26
	s_cbranch_execnz .LBB15_9
	s_branch .LBB15_97
.LBB15_93:                              ;   in Loop: Header=BB15_12 Depth=1
	v_mov_b32_e32 v11, v20
	s_branch .LBB15_81
.LBB15_94:                              ;   in Loop: Header=BB15_12 Depth=1
	v_mov_b32_e32 v11, v22
	s_branch .LBB15_85
.LBB15_95:                              ;   in Loop: Header=BB15_12 Depth=1
	v_mov_b32_e32 v11, v24
	s_branch .LBB15_89
.LBB15_96:                              ;   in Loop: Header=BB15_12 Depth=1
	v_mov_b32_e32 v11, v26
.LBB15_97:                              ;   in Loop: Header=BB15_12 Depth=1
	v_add_u32_e32 v6, v10, v25
	v_mov_b32_e32 v11, v19
	s_branch .LBB15_9
.LBB15_98:
	s_endpgm
	.section	.rodata,"a",@progbits
	.p2align	6, 0x0
	.amdhsa_kernel _ZN9rocsparseL39bsrgeam_block_per_row_multipass_kernel2ILj256ELj32EdEEv20rocsparse_direction_iiiNS_24const_host_device_scalarIT1_EEPKiS6_PKS3_S4_S6_S6_S8_S6_PiPS3_21rocsparse_index_base_SB_SB_b
		.amdhsa_group_segment_fixed_size 8200
		.amdhsa_private_segment_fixed_size 0
		.amdhsa_kernarg_size 120
		.amdhsa_user_sgpr_count 6
		.amdhsa_user_sgpr_private_segment_buffer 1
		.amdhsa_user_sgpr_dispatch_ptr 0
		.amdhsa_user_sgpr_queue_ptr 0
		.amdhsa_user_sgpr_kernarg_segment_ptr 1
		.amdhsa_user_sgpr_dispatch_id 0
		.amdhsa_user_sgpr_flat_scratch_init 0
		.amdhsa_user_sgpr_private_segment_size 0
		.amdhsa_uses_dynamic_stack 0
		.amdhsa_system_sgpr_private_segment_wavefront_offset 0
		.amdhsa_system_sgpr_workgroup_id_x 1
		.amdhsa_system_sgpr_workgroup_id_y 0
		.amdhsa_system_sgpr_workgroup_id_z 0
		.amdhsa_system_sgpr_workgroup_info 0
		.amdhsa_system_vgpr_workitem_id 0
		.amdhsa_next_free_vgpr 33
		.amdhsa_next_free_sgpr 77
		.amdhsa_reserve_vcc 1
		.amdhsa_reserve_flat_scratch 0
		.amdhsa_float_round_mode_32 0
		.amdhsa_float_round_mode_16_64 0
		.amdhsa_float_denorm_mode_32 3
		.amdhsa_float_denorm_mode_16_64 3
		.amdhsa_dx10_clamp 1
		.amdhsa_ieee_mode 1
		.amdhsa_fp16_overflow 0
		.amdhsa_exception_fp_ieee_invalid_op 0
		.amdhsa_exception_fp_denorm_src 0
		.amdhsa_exception_fp_ieee_div_zero 0
		.amdhsa_exception_fp_ieee_overflow 0
		.amdhsa_exception_fp_ieee_underflow 0
		.amdhsa_exception_fp_ieee_inexact 0
		.amdhsa_exception_int_div_zero 0
	.end_amdhsa_kernel
	.section	.text._ZN9rocsparseL39bsrgeam_block_per_row_multipass_kernel2ILj256ELj32EdEEv20rocsparse_direction_iiiNS_24const_host_device_scalarIT1_EEPKiS6_PKS3_S4_S6_S6_S8_S6_PiPS3_21rocsparse_index_base_SB_SB_b,"axG",@progbits,_ZN9rocsparseL39bsrgeam_block_per_row_multipass_kernel2ILj256ELj32EdEEv20rocsparse_direction_iiiNS_24const_host_device_scalarIT1_EEPKiS6_PKS3_S4_S6_S6_S8_S6_PiPS3_21rocsparse_index_base_SB_SB_b,comdat
.Lfunc_end15:
	.size	_ZN9rocsparseL39bsrgeam_block_per_row_multipass_kernel2ILj256ELj32EdEEv20rocsparse_direction_iiiNS_24const_host_device_scalarIT1_EEPKiS6_PKS3_S4_S6_S6_S8_S6_PiPS3_21rocsparse_index_base_SB_SB_b, .Lfunc_end15-_ZN9rocsparseL39bsrgeam_block_per_row_multipass_kernel2ILj256ELj32EdEEv20rocsparse_direction_iiiNS_24const_host_device_scalarIT1_EEPKiS6_PKS3_S4_S6_S6_S8_S6_PiPS3_21rocsparse_index_base_SB_SB_b
                                        ; -- End function
	.set _ZN9rocsparseL39bsrgeam_block_per_row_multipass_kernel2ILj256ELj32EdEEv20rocsparse_direction_iiiNS_24const_host_device_scalarIT1_EEPKiS6_PKS3_S4_S6_S6_S8_S6_PiPS3_21rocsparse_index_base_SB_SB_b.num_vgpr, 32
	.set _ZN9rocsparseL39bsrgeam_block_per_row_multipass_kernel2ILj256ELj32EdEEv20rocsparse_direction_iiiNS_24const_host_device_scalarIT1_EEPKiS6_PKS3_S4_S6_S6_S8_S6_PiPS3_21rocsparse_index_base_SB_SB_b.num_agpr, 0
	.set _ZN9rocsparseL39bsrgeam_block_per_row_multipass_kernel2ILj256ELj32EdEEv20rocsparse_direction_iiiNS_24const_host_device_scalarIT1_EEPKiS6_PKS3_S4_S6_S6_S8_S6_PiPS3_21rocsparse_index_base_SB_SB_b.numbered_sgpr, 48
	.set _ZN9rocsparseL39bsrgeam_block_per_row_multipass_kernel2ILj256ELj32EdEEv20rocsparse_direction_iiiNS_24const_host_device_scalarIT1_EEPKiS6_PKS3_S4_S6_S6_S8_S6_PiPS3_21rocsparse_index_base_SB_SB_b.num_named_barrier, 0
	.set _ZN9rocsparseL39bsrgeam_block_per_row_multipass_kernel2ILj256ELj32EdEEv20rocsparse_direction_iiiNS_24const_host_device_scalarIT1_EEPKiS6_PKS3_S4_S6_S6_S8_S6_PiPS3_21rocsparse_index_base_SB_SB_b.private_seg_size, 0
	.set _ZN9rocsparseL39bsrgeam_block_per_row_multipass_kernel2ILj256ELj32EdEEv20rocsparse_direction_iiiNS_24const_host_device_scalarIT1_EEPKiS6_PKS3_S4_S6_S6_S8_S6_PiPS3_21rocsparse_index_base_SB_SB_b.uses_vcc, 1
	.set _ZN9rocsparseL39bsrgeam_block_per_row_multipass_kernel2ILj256ELj32EdEEv20rocsparse_direction_iiiNS_24const_host_device_scalarIT1_EEPKiS6_PKS3_S4_S6_S6_S8_S6_PiPS3_21rocsparse_index_base_SB_SB_b.uses_flat_scratch, 0
	.set _ZN9rocsparseL39bsrgeam_block_per_row_multipass_kernel2ILj256ELj32EdEEv20rocsparse_direction_iiiNS_24const_host_device_scalarIT1_EEPKiS6_PKS3_S4_S6_S6_S8_S6_PiPS3_21rocsparse_index_base_SB_SB_b.has_dyn_sized_stack, 0
	.set _ZN9rocsparseL39bsrgeam_block_per_row_multipass_kernel2ILj256ELj32EdEEv20rocsparse_direction_iiiNS_24const_host_device_scalarIT1_EEPKiS6_PKS3_S4_S6_S6_S8_S6_PiPS3_21rocsparse_index_base_SB_SB_b.has_recursion, 0
	.set _ZN9rocsparseL39bsrgeam_block_per_row_multipass_kernel2ILj256ELj32EdEEv20rocsparse_direction_iiiNS_24const_host_device_scalarIT1_EEPKiS6_PKS3_S4_S6_S6_S8_S6_PiPS3_21rocsparse_index_base_SB_SB_b.has_indirect_call, 0
	.section	.AMDGPU.csdata,"",@progbits
; Kernel info:
; codeLenInByte = 2780
; TotalNumSgprs: 52
; NumVgprs: 32
; ScratchSize: 0
; MemoryBound: 0
; FloatMode: 240
; IeeeMode: 1
; LDSByteSize: 8200 bytes/workgroup (compile time only)
; SGPRBlocks: 10
; VGPRBlocks: 8
; NumSGPRsForWavesPerEU: 81
; NumVGPRsForWavesPerEU: 33
; Occupancy: 7
; WaveLimiterHint : 1
; COMPUTE_PGM_RSRC2:SCRATCH_EN: 0
; COMPUTE_PGM_RSRC2:USER_SGPR: 6
; COMPUTE_PGM_RSRC2:TRAP_HANDLER: 0
; COMPUTE_PGM_RSRC2:TGID_X_EN: 1
; COMPUTE_PGM_RSRC2:TGID_Y_EN: 0
; COMPUTE_PGM_RSRC2:TGID_Z_EN: 0
; COMPUTE_PGM_RSRC2:TIDIG_COMP_CNT: 0
	.section	.text._ZN9rocsparseL39bsrgeam_wf_per_row_multipass_2_3_kernelILj256ELj2ELj32E21rocsparse_complex_numIfEEEv20rocsparse_direction_iiiNS_24const_host_device_scalarIT2_EEPKiS8_PKS5_S6_S8_S8_SA_S8_PiPS5_21rocsparse_index_base_SD_SD_b,"axG",@progbits,_ZN9rocsparseL39bsrgeam_wf_per_row_multipass_2_3_kernelILj256ELj2ELj32E21rocsparse_complex_numIfEEEv20rocsparse_direction_iiiNS_24const_host_device_scalarIT2_EEPKiS8_PKS5_S6_S8_S8_SA_S8_PiPS5_21rocsparse_index_base_SD_SD_b,comdat
	.globl	_ZN9rocsparseL39bsrgeam_wf_per_row_multipass_2_3_kernelILj256ELj2ELj32E21rocsparse_complex_numIfEEEv20rocsparse_direction_iiiNS_24const_host_device_scalarIT2_EEPKiS8_PKS5_S6_S8_S8_SA_S8_PiPS5_21rocsparse_index_base_SD_SD_b ; -- Begin function _ZN9rocsparseL39bsrgeam_wf_per_row_multipass_2_3_kernelILj256ELj2ELj32E21rocsparse_complex_numIfEEEv20rocsparse_direction_iiiNS_24const_host_device_scalarIT2_EEPKiS8_PKS5_S6_S8_S8_SA_S8_PiPS5_21rocsparse_index_base_SD_SD_b
	.p2align	8
	.type	_ZN9rocsparseL39bsrgeam_wf_per_row_multipass_2_3_kernelILj256ELj2ELj32E21rocsparse_complex_numIfEEEv20rocsparse_direction_iiiNS_24const_host_device_scalarIT2_EEPKiS8_PKS5_S6_S8_S8_SA_S8_PiPS5_21rocsparse_index_base_SD_SD_b,@function
_ZN9rocsparseL39bsrgeam_wf_per_row_multipass_2_3_kernelILj256ELj2ELj32E21rocsparse_complex_numIfEEEv20rocsparse_direction_iiiNS_24const_host_device_scalarIT2_EEPKiS8_PKS5_S6_S8_S8_SA_S8_PiPS5_21rocsparse_index_base_SD_SD_b: ; @_ZN9rocsparseL39bsrgeam_wf_per_row_multipass_2_3_kernelILj256ELj2ELj32E21rocsparse_complex_numIfEEEv20rocsparse_direction_iiiNS_24const_host_device_scalarIT2_EEPKiS8_PKS5_S6_S8_S8_SA_S8_PiPS5_21rocsparse_index_base_SD_SD_b
; %bb.0:
	s_load_dwordx4 s[8:11], s[4:5], 0x68
	s_load_dwordx2 s[28:29], s[4:5], 0x10
	s_load_dwordx2 s[30:31], s[4:5], 0x30
	s_waitcnt lgkmcnt(0)
	s_bitcmp1_b32 s11, 0
	s_cselect_b64 s[0:1], -1, 0
	s_xor_b64 s[2:3], s[0:1], -1
	s_and_b64 vcc, exec, s[0:1]
	s_mov_b32 s33, s28
	s_cbranch_vccz .LBB16_41
; %bb.1:
	v_cndmask_b32_e64 v1, 0, 1, s[2:3]
	v_cmp_ne_u32_e64 s[0:1], 1, v1
	s_andn2_b64 vcc, exec, s[2:3]
	s_cbranch_vccz .LBB16_42
.LBB16_2:
	s_and_b64 vcc, exec, s[0:1]
	s_mov_b32 s28, s30
	s_cbranch_vccz .LBB16_43
.LBB16_3:
	s_and_b64 vcc, exec, s[0:1]
	s_cbranch_vccnz .LBB16_5
.LBB16_4:
	s_load_dword s31, s[30:31], 0x4
.LBB16_5:
	s_nop 0
	s_load_dwordx4 s[12:15], s[4:5], 0x0
	s_lshl_b32 s0, s6, 3
	v_lshrrev_b32_e32 v8, 5, v0
	s_and_b32 s0, s0, 0x7fffff8
	v_or_b32_e32 v1, s0, v8
	s_waitcnt lgkmcnt(0)
	v_cmp_gt_i32_e32 vcc, s13, v1
	s_and_saveexec_b64 s[0:1], vcc
	s_cbranch_execz .LBB16_40
; %bb.6:
	s_load_dwordx4 s[16:19], s[4:5], 0x18
	s_load_dwordx4 s[20:23], s[4:5], 0x38
	s_load_dwordx2 s[0:1], s[4:5], 0x50
	v_lshlrev_b32_e32 v5, 2, v1
	s_waitcnt lgkmcnt(0)
	global_load_dwordx2 v[1:2], v5, s[16:17]
	global_load_dwordx2 v[3:4], v5, s[20:21]
	global_load_dword v9, v5, s[0:1]
	s_waitcnt vmcnt(2)
	v_subrev_u32_e32 v5, s8, v1
	v_cmp_lt_i32_e32 vcc, v1, v2
	v_mov_b32_e32 v1, s14
	s_and_saveexec_b64 s[0:1], vcc
	s_cbranch_execz .LBB16_8
; %bb.7:
	v_ashrrev_i32_e32 v6, 31, v5
	v_lshlrev_b64 v[6:7], 2, v[5:6]
	v_mov_b32_e32 v1, s19
	v_add_co_u32_e32 v6, vcc, s18, v6
	v_addc_co_u32_e32 v7, vcc, v1, v7, vcc
	global_load_dword v1, v[6:7], off
	s_waitcnt vmcnt(0)
	v_subrev_u32_e32 v1, s8, v1
.LBB16_8:
	s_or_b64 exec, exec, s[0:1]
	s_load_dwordx4 s[24:27], s[4:5], 0x58
	s_load_dwordx2 s[6:7], s[4:5], 0x28
	s_load_dwordx2 s[16:17], s[4:5], 0x48
	s_waitcnt vmcnt(1)
	v_subrev_u32_e32 v6, s9, v3
	v_cmp_lt_i32_e32 vcc, v3, v4
	v_mov_b32_e32 v3, s14
	s_and_saveexec_b64 s[0:1], vcc
	s_cbranch_execz .LBB16_10
; %bb.9:
	v_ashrrev_i32_e32 v7, 31, v6
	v_lshlrev_b64 v[10:11], 2, v[6:7]
	v_mov_b32_e32 v3, s23
	v_add_co_u32_e32 v10, vcc, s22, v10
	v_addc_co_u32_e32 v11, vcc, v3, v11, vcc
	global_load_dword v3, v[10:11], off
	s_waitcnt vmcnt(0)
	v_subrev_u32_e32 v3, s9, v3
.LBB16_10:
	s_or_b64 exec, exec, s[0:1]
	v_min_i32_e32 v33, v3, v1
	v_mbcnt_lo_u32_b32 v1, -1, 0
	v_and_b32_e32 v7, 0xe0, v0
	v_and_b32_e32 v0, 31, v0
	v_mbcnt_hi_u32_b32 v1, -1, v1
	v_subrev_u32_e32 v18, s8, v2
	v_and_b32_e32 v2, 64, v1
	v_xor_b32_e32 v3, 31, v0
	v_add_u32_e32 v2, 64, v2
	v_lshrrev_b32_e64 v22, v3, -1
	v_xor_b32_e32 v3, 16, v1
	v_cmp_lt_i32_e32 vcc, v3, v2
	v_cndmask_b32_e32 v3, v1, v3, vcc
	v_lshlrev_b32_e32 v24, 2, v3
	v_xor_b32_e32 v3, 8, v1
	v_cmp_lt_i32_e32 vcc, v3, v2
	v_cndmask_b32_e32 v3, v1, v3, vcc
	v_lshlrev_b32_e32 v25, 2, v3
	;; [unrolled: 4-line block ×4, first 2 shown]
	v_xor_b32_e32 v3, 1, v1
	s_cmp_lg_u32 s12, 0
	v_cmp_lt_i32_e32 vcc, v3, v2
	v_or_b32_e32 v16, 0x2000, v7
	v_lshlrev_b32_e32 v17, 10, v8
	s_mov_b32 s0, 0
	s_cselect_b64 s[20:21], -1, 0
	s_cmp_eq_u32 s12, 0
	v_cndmask_b32_e32 v1, v1, v3, vcc
	v_subrev_u32_e32 v19, s9, v4
	s_waitcnt vmcnt(0)
	v_subrev_u32_e32 v20, s10, v9
	v_add_u32_e32 v8, v5, v0
	v_add_u32_e32 v10, v6, v0
	v_lshl_or_b32 v21, v0, 5, v17
	v_add_u32_e32 v23, s10, v0
	v_lshlrev_b32_e32 v28, 2, v1
	s_cselect_b32 s10, 8, 16
	s_cselect_b32 s11, 16, 8
	v_add_u32_e32 v29, v16, v0
	s_mov_b32 s1, s0
	s_mov_b32 s2, s0
	;; [unrolled: 1-line block ×3, first 2 shown]
	v_mov_b32_e32 v0, s0
	v_cndmask_b32_e64 v4, 0, 1, s[20:21]
	s_mov_b64 s[4:5], 0
	v_mov_b32_e32 v13, 0
	v_mov_b32_e32 v1, s1
	;; [unrolled: 1-line block ×5, first 2 shown]
	v_cmp_ne_u32_e64 s[0:1], 1, v4
	v_add_u32_e32 v31, s10, v21
	v_add_u32_e32 v32, s11, v21
	s_branch .LBB16_12
.LBB16_11:                              ;   in Loop: Header=BB16_12 Depth=1
	s_or_b64 exec, exec, s[10:11]
	ds_bpermute_b32 v4, v24, v34
	s_bcnt1_i32_b64 s2, vcc
	v_add_u32_e32 v20, s2, v20
	s_waitcnt lgkmcnt(0)
	v_min_i32_e32 v4, v4, v34
	ds_bpermute_b32 v5, v25, v4
	s_waitcnt lgkmcnt(0)
	v_min_i32_e32 v4, v5, v4
	ds_bpermute_b32 v5, v26, v4
	;; [unrolled: 3-line block ×4, first 2 shown]
	s_waitcnt lgkmcnt(0)
	v_min_i32_e32 v33, v5, v4
	v_cmp_le_i32_e32 vcc, s14, v33
	s_or_b64 s[4:5], vcc, s[4:5]
	s_andn2_b64 exec, exec, s[4:5]
	s_cbranch_execz .LBB16_40
.LBB16_12:                              ; =>This Loop Header: Depth=1
                                        ;     Child Loop BB16_15 Depth 2
                                        ;     Child Loop BB16_28 Depth 2
	v_cmp_lt_i32_e32 vcc, v8, v18
	v_mov_b32_e32 v34, s14
	ds_write_b8 v29, v13
	ds_write_b128 v21, v[0:3]
	ds_write_b128 v21, v[0:3] offset:16
	s_waitcnt lgkmcnt(0)
	s_and_saveexec_b64 s[10:11], vcc
	s_cbranch_execz .LBB16_25
; %bb.13:                               ;   in Loop: Header=BB16_12 Depth=1
	v_lshlrev_b32_e32 v12, 2, v8
	s_mov_b64 s[12:13], 0
	v_mov_b32_e32 v34, s14
	s_branch .LBB16_15
.LBB16_14:                              ;   in Loop: Header=BB16_15 Depth=2
	s_or_b64 exec, exec, s[34:35]
	s_and_b64 s[2:3], exec, s[20:21]
	s_or_b64 s[12:13], s[2:3], s[12:13]
	s_andn2_b64 exec, exec, s[12:13]
	s_cbranch_execz .LBB16_24
.LBB16_15:                              ;   Parent Loop BB16_12 Depth=1
                                        ; =>  This Inner Loop Header: Depth=2
	v_ashrrev_i32_e32 v9, 31, v8
	v_lshlrev_b64 v[4:5], 2, v[8:9]
	v_mov_b32_e32 v6, s19
	v_add_co_u32_e32 v4, vcc, s18, v4
	v_addc_co_u32_e32 v5, vcc, v6, v5, vcc
	global_load_dword v4, v[4:5], off
	s_waitcnt vmcnt(0)
	v_subrev_u32_e32 v4, s8, v4
	v_sub_u32_e32 v6, v4, v33
	v_cmp_gt_u32_e64 s[2:3], 32, v6
	v_cmp_lt_u32_e32 vcc, 31, v6
	s_and_saveexec_b64 s[20:21], vcc
	s_xor_b64 s[20:21], exec, s[20:21]
; %bb.16:                               ;   in Loop: Header=BB16_15 Depth=2
	v_min_i32_e32 v34, v4, v34
                                        ; implicit-def: $vgpr6
; %bb.17:                               ;   in Loop: Header=BB16_15 Depth=2
	s_andn2_saveexec_b64 s[20:21], s[20:21]
	s_cbranch_execz .LBB16_22
; %bb.18:                               ;   in Loop: Header=BB16_15 Depth=2
	v_lshlrev_b64 v[4:5], 3, v[12:13]
	v_mov_b32_e32 v7, s7
	v_add_co_u32_e32 v4, vcc, s6, v4
	v_addc_co_u32_e32 v5, vcc, v7, v5, vcc
	global_load_dwordx2 v[14:15], v[4:5], off
	v_add_u32_e32 v7, v16, v6
	v_lshlrev_b32_e32 v6, 5, v6
	s_and_b64 vcc, exec, s[0:1]
	v_add_u32_e32 v6, v17, v6
	s_mov_b64 s[34:35], -1
	ds_write_b8 v7, v30
	s_waitcnt vmcnt(0)
	v_mul_f32_e64 v35, v15, -s29
	v_mul_f32_e32 v36, s33, v15
	v_fmac_f32_e32 v35, s33, v14
	v_fmac_f32_e32 v36, s29, v14
	ds_write_b64 v6, v[35:36]
	s_cbranch_vccnz .LBB16_20
; %bb.19:                               ;   in Loop: Header=BB16_15 Depth=2
	global_load_dwordx4 v[35:38], v[4:5], off offset:8
	global_load_dwordx2 v[14:15], v[4:5], off offset:24
	s_mov_b64 s[34:35], 0
	s_waitcnt vmcnt(1)
	v_mul_f32_e64 v39, v38, -s29
	v_mul_f32_e32 v40, s33, v38
	v_mul_f32_e64 v41, v36, -s29
	v_mul_f32_e32 v42, s33, v36
	s_waitcnt vmcnt(0)
	v_mul_f32_e64 v43, v15, -s29
	v_mul_f32_e32 v44, s33, v15
	v_fmac_f32_e32 v39, s33, v37
	v_fmac_f32_e32 v40, s29, v37
	;; [unrolled: 1-line block ×6, first 2 shown]
	ds_write2_b64 v6, v[39:40], v[41:42] offset0:1 offset1:2
	ds_write_b64 v6, v[43:44] offset:24
.LBB16_20:                              ;   in Loop: Header=BB16_15 Depth=2
	s_andn2_b64 vcc, exec, s[34:35]
	s_cbranch_vccnz .LBB16_22
; %bb.21:                               ;   in Loop: Header=BB16_15 Depth=2
	global_load_dwordx4 v[35:38], v[4:5], off offset:8
	global_load_dwordx2 v[14:15], v[4:5], off offset:24
	s_waitcnt vmcnt(1)
	v_mul_f32_e64 v4, v36, -s29
	v_mul_f32_e32 v5, s33, v36
	v_mul_f32_e64 v39, v38, -s29
	v_mul_f32_e32 v40, s33, v38
	s_waitcnt vmcnt(0)
	v_mul_f32_e64 v41, v15, -s29
	v_mul_f32_e32 v42, s33, v15
	v_fmac_f32_e32 v4, s33, v35
	v_fmac_f32_e32 v5, s29, v35
	;; [unrolled: 1-line block ×6, first 2 shown]
	ds_write2_b64 v6, v[4:5], v[39:40] offset0:1 offset1:2
	ds_write_b64 v6, v[41:42] offset:24
.LBB16_22:                              ;   in Loop: Header=BB16_15 Depth=2
	s_or_b64 exec, exec, s[20:21]
	s_mov_b64 s[20:21], -1
	s_and_saveexec_b64 s[34:35], s[2:3]
	s_cbranch_execz .LBB16_14
; %bb.23:                               ;   in Loop: Header=BB16_15 Depth=2
	v_add_u32_e32 v8, 32, v8
	v_cmp_ge_i32_e32 vcc, v8, v18
	v_add_u32_e32 v12, 0x80, v12
	s_orn2_b64 s[20:21], vcc, exec
	s_branch .LBB16_14
.LBB16_24:                              ;   in Loop: Header=BB16_12 Depth=1
	s_or_b64 exec, exec, s[12:13]
.LBB16_25:                              ;   in Loop: Header=BB16_12 Depth=1
	s_or_b64 exec, exec, s[10:11]
	v_cmp_lt_i32_e32 vcc, v10, v19
	s_waitcnt lgkmcnt(0)
	s_and_saveexec_b64 s[10:11], vcc
	s_cbranch_execz .LBB16_38
; %bb.26:                               ;   in Loop: Header=BB16_12 Depth=1
	v_lshlrev_b32_e32 v12, 2, v10
	s_mov_b64 s[12:13], 0
	s_branch .LBB16_28
.LBB16_27:                              ;   in Loop: Header=BB16_28 Depth=2
	s_or_b64 exec, exec, s[34:35]
	s_and_b64 s[2:3], exec, s[20:21]
	s_or_b64 s[12:13], s[2:3], s[12:13]
	s_andn2_b64 exec, exec, s[12:13]
	s_cbranch_execz .LBB16_37
.LBB16_28:                              ;   Parent Loop BB16_12 Depth=1
                                        ; =>  This Inner Loop Header: Depth=2
	v_ashrrev_i32_e32 v11, 31, v10
	v_lshlrev_b64 v[4:5], 2, v[10:11]
	v_mov_b32_e32 v6, s23
	v_add_co_u32_e32 v4, vcc, s22, v4
	v_addc_co_u32_e32 v5, vcc, v6, v5, vcc
	global_load_dword v4, v[4:5], off
	s_waitcnt vmcnt(0)
	v_subrev_u32_e32 v4, s9, v4
	v_sub_u32_e32 v11, v4, v33
	v_cmp_gt_u32_e64 s[2:3], 32, v11
	v_cmp_lt_u32_e32 vcc, 31, v11
	s_and_saveexec_b64 s[20:21], vcc
	s_xor_b64 s[20:21], exec, s[20:21]
; %bb.29:                               ;   in Loop: Header=BB16_28 Depth=2
	v_min_i32_e32 v34, v4, v34
                                        ; implicit-def: $vgpr11
; %bb.30:                               ;   in Loop: Header=BB16_28 Depth=2
	s_andn2_saveexec_b64 s[20:21], s[20:21]
	s_cbranch_execz .LBB16_35
; %bb.31:                               ;   in Loop: Header=BB16_28 Depth=2
	v_lshlrev_b64 v[4:5], 3, v[12:13]
	v_mov_b32_e32 v6, s17
	v_add_co_u32_e32 v14, vcc, s16, v4
	v_addc_co_u32_e32 v15, vcc, v6, v5, vcc
	global_load_dwordx2 v[35:36], v[14:15], off
	v_lshlrev_b32_e32 v4, 5, v11
	v_add_u32_e32 v9, v17, v4
	ds_read_b128 v[4:7], v9
	v_add_u32_e32 v11, v16, v11
	s_and_b64 vcc, exec, s[0:1]
	s_mov_b64 s[34:35], -1
	ds_write_b8 v11, v30
	s_waitcnt vmcnt(0) lgkmcnt(1)
	v_fma_f32 v4, s28, v35, v4
	v_fma_f32 v5, s31, v35, v5
	v_fma_f32 v4, -s31, v36, v4
	v_fmac_f32_e32 v5, s28, v36
	ds_write_b64 v9, v[4:5]
	s_cbranch_vccnz .LBB16_33
; %bb.32:                               ;   in Loop: Header=BB16_28 Depth=2
	global_load_dwordx4 v[35:38], v[14:15], off offset:8
	global_load_dwordx2 v[4:5], v[14:15], off offset:24
	ds_read_b128 v[39:42], v9 offset:16
	s_mov_b64 s[34:35], 0
	s_waitcnt vmcnt(1)
	v_fma_f32 v11, s28, v37, v6
	v_fma_f32 v44, s31, v37, v7
	s_waitcnt lgkmcnt(0)
	v_fma_f32 v37, s28, v35, v39
	v_fma_f32 v39, s31, v35, v40
	s_waitcnt vmcnt(0)
	v_fma_f32 v35, s28, v4, v41
	v_fmac_f32_e32 v42, s31, v4
	v_fma_f32 v43, -s31, v38, v11
	v_fmac_f32_e32 v44, s28, v38
	v_fma_f32 v38, -s31, v36, v37
	;; [unrolled: 2-line block ×3, first 2 shown]
	v_fmac_f32_e32 v42, s28, v5
	ds_write2_b64 v9, v[43:44], v[38:39] offset0:1 offset1:2
	ds_write_b64 v9, v[41:42] offset:24
.LBB16_33:                              ;   in Loop: Header=BB16_28 Depth=2
	s_andn2_b64 vcc, exec, s[34:35]
	s_cbranch_vccnz .LBB16_35
; %bb.34:                               ;   in Loop: Header=BB16_28 Depth=2
	global_load_dwordx4 v[35:38], v[14:15], off offset:8
	global_load_dwordx2 v[4:5], v[14:15], off offset:24
	ds_read_b128 v[39:42], v9 offset:16
	s_waitcnt vmcnt(1)
	v_fmac_f32_e32 v7, s31, v35
	v_fma_f32 v6, s28, v35, v6
	s_waitcnt lgkmcnt(0)
	v_fma_f32 v11, s28, v37, v39
	v_fma_f32 v15, s31, v37, v40
	s_waitcnt vmcnt(0)
	v_fma_f32 v35, s28, v4, v41
	v_fmac_f32_e32 v42, s31, v4
	v_fmac_f32_e32 v7, s28, v36
	v_fma_f32 v4, -s31, v36, v6
	v_fma_f32 v14, -s31, v38, v11
	v_fmac_f32_e32 v15, s28, v38
	v_fma_f32 v41, -s31, v5, v35
	v_fmac_f32_e32 v42, s28, v5
	v_mov_b32_e32 v5, v7
	ds_write2_b64 v9, v[4:5], v[14:15] offset0:1 offset1:2
	ds_write_b64 v9, v[41:42] offset:24
.LBB16_35:                              ;   in Loop: Header=BB16_28 Depth=2
	s_or_b64 exec, exec, s[20:21]
	s_mov_b64 s[20:21], -1
	s_and_saveexec_b64 s[34:35], s[2:3]
	s_cbranch_execz .LBB16_27
; %bb.36:                               ;   in Loop: Header=BB16_28 Depth=2
	v_add_u32_e32 v10, 32, v10
	v_cmp_ge_i32_e32 vcc, v10, v19
	v_add_u32_e32 v12, 0x80, v12
	s_orn2_b64 s[20:21], vcc, exec
	s_branch .LBB16_27
.LBB16_37:                              ;   in Loop: Header=BB16_12 Depth=1
	s_or_b64 exec, exec, s[12:13]
.LBB16_38:                              ;   in Loop: Header=BB16_12 Depth=1
	s_or_b64 exec, exec, s[10:11]
	s_waitcnt lgkmcnt(0)
	ds_read_u8 v4, v29
	s_waitcnt lgkmcnt(0)
	v_and_b32_e32 v5, 1, v4
	v_cmp_eq_u32_e64 s[2:3], 1, v5
	v_cmp_ne_u16_e32 vcc, 0, v4
	s_and_saveexec_b64 s[10:11], s[2:3]
	s_cbranch_execz .LBB16_11
; %bb.39:                               ;   in Loop: Header=BB16_12 Depth=1
	v_and_b32_e32 v4, vcc_lo, v22
	v_bcnt_u32_b32 v4, v4, 0
	v_add3_u32 v11, v20, v4, -1
	v_ashrrev_i32_e32 v12, 31, v11
	v_lshlrev_b64 v[4:5], 2, v[11:12]
	v_mov_b32_e32 v6, s25
	v_add_co_u32_e64 v14, s[2:3], s24, v4
	v_addc_co_u32_e64 v15, s[2:3], v6, v5, s[2:3]
	ds_read2_b64 v[4:7], v21 offset1:3
	v_add_u32_e32 v9, v23, v33
	global_store_dword v[14:15], v9, off
	v_lshlrev_b32_e32 v12, 2, v11
	v_lshlrev_b64 v[11:12], 3, v[12:13]
	s_waitcnt lgkmcnt(0)
	v_mov_b32_e32 v35, v4
	v_mov_b32_e32 v36, v5
	ds_read_b64 v[37:38], v31
	ds_read_b64 v[4:5], v32
	v_mov_b32_e32 v9, s27
	v_add_co_u32_e64 v11, s[2:3], s26, v11
	v_addc_co_u32_e64 v12, s[2:3], v9, v12, s[2:3]
	s_waitcnt lgkmcnt(1)
	global_store_dwordx4 v[11:12], v[35:38], off
	s_waitcnt lgkmcnt(0)
	global_store_dwordx4 v[11:12], v[4:7], off offset:16
	s_branch .LBB16_11
.LBB16_40:
	s_endpgm
.LBB16_41:
	s_load_dword s33, s[28:29], 0x0
	v_cndmask_b32_e64 v1, 0, 1, s[2:3]
	v_cmp_ne_u32_e64 s[0:1], 1, v1
	s_andn2_b64 vcc, exec, s[2:3]
	s_cbranch_vccnz .LBB16_2
.LBB16_42:
	s_load_dword s29, s[28:29], 0x4
	s_and_b64 vcc, exec, s[0:1]
	s_mov_b32 s28, s30
	s_cbranch_vccnz .LBB16_3
.LBB16_43:
	s_load_dword s28, s[30:31], 0x0
	s_and_b64 vcc, exec, s[0:1]
	s_cbranch_vccz .LBB16_4
	s_branch .LBB16_5
	.section	.rodata,"a",@progbits
	.p2align	6, 0x0
	.amdhsa_kernel _ZN9rocsparseL39bsrgeam_wf_per_row_multipass_2_3_kernelILj256ELj2ELj32E21rocsparse_complex_numIfEEEv20rocsparse_direction_iiiNS_24const_host_device_scalarIT2_EEPKiS8_PKS5_S6_S8_S8_SA_S8_PiPS5_21rocsparse_index_base_SD_SD_b
		.amdhsa_group_segment_fixed_size 8448
		.amdhsa_private_segment_fixed_size 0
		.amdhsa_kernarg_size 120
		.amdhsa_user_sgpr_count 6
		.amdhsa_user_sgpr_private_segment_buffer 1
		.amdhsa_user_sgpr_dispatch_ptr 0
		.amdhsa_user_sgpr_queue_ptr 0
		.amdhsa_user_sgpr_kernarg_segment_ptr 1
		.amdhsa_user_sgpr_dispatch_id 0
		.amdhsa_user_sgpr_flat_scratch_init 0
		.amdhsa_user_sgpr_private_segment_size 0
		.amdhsa_uses_dynamic_stack 0
		.amdhsa_system_sgpr_private_segment_wavefront_offset 0
		.amdhsa_system_sgpr_workgroup_id_x 1
		.amdhsa_system_sgpr_workgroup_id_y 0
		.amdhsa_system_sgpr_workgroup_id_z 0
		.amdhsa_system_sgpr_workgroup_info 0
		.amdhsa_system_vgpr_workitem_id 0
		.amdhsa_next_free_vgpr 45
		.amdhsa_next_free_sgpr 77
		.amdhsa_reserve_vcc 1
		.amdhsa_reserve_flat_scratch 0
		.amdhsa_float_round_mode_32 0
		.amdhsa_float_round_mode_16_64 0
		.amdhsa_float_denorm_mode_32 3
		.amdhsa_float_denorm_mode_16_64 3
		.amdhsa_dx10_clamp 1
		.amdhsa_ieee_mode 1
		.amdhsa_fp16_overflow 0
		.amdhsa_exception_fp_ieee_invalid_op 0
		.amdhsa_exception_fp_denorm_src 0
		.amdhsa_exception_fp_ieee_div_zero 0
		.amdhsa_exception_fp_ieee_overflow 0
		.amdhsa_exception_fp_ieee_underflow 0
		.amdhsa_exception_fp_ieee_inexact 0
		.amdhsa_exception_int_div_zero 0
	.end_amdhsa_kernel
	.section	.text._ZN9rocsparseL39bsrgeam_wf_per_row_multipass_2_3_kernelILj256ELj2ELj32E21rocsparse_complex_numIfEEEv20rocsparse_direction_iiiNS_24const_host_device_scalarIT2_EEPKiS8_PKS5_S6_S8_S8_SA_S8_PiPS5_21rocsparse_index_base_SD_SD_b,"axG",@progbits,_ZN9rocsparseL39bsrgeam_wf_per_row_multipass_2_3_kernelILj256ELj2ELj32E21rocsparse_complex_numIfEEEv20rocsparse_direction_iiiNS_24const_host_device_scalarIT2_EEPKiS8_PKS5_S6_S8_S8_SA_S8_PiPS5_21rocsparse_index_base_SD_SD_b,comdat
.Lfunc_end16:
	.size	_ZN9rocsparseL39bsrgeam_wf_per_row_multipass_2_3_kernelILj256ELj2ELj32E21rocsparse_complex_numIfEEEv20rocsparse_direction_iiiNS_24const_host_device_scalarIT2_EEPKiS8_PKS5_S6_S8_S8_SA_S8_PiPS5_21rocsparse_index_base_SD_SD_b, .Lfunc_end16-_ZN9rocsparseL39bsrgeam_wf_per_row_multipass_2_3_kernelILj256ELj2ELj32E21rocsparse_complex_numIfEEEv20rocsparse_direction_iiiNS_24const_host_device_scalarIT2_EEPKiS8_PKS5_S6_S8_S8_SA_S8_PiPS5_21rocsparse_index_base_SD_SD_b
                                        ; -- End function
	.set _ZN9rocsparseL39bsrgeam_wf_per_row_multipass_2_3_kernelILj256ELj2ELj32E21rocsparse_complex_numIfEEEv20rocsparse_direction_iiiNS_24const_host_device_scalarIT2_EEPKiS8_PKS5_S6_S8_S8_SA_S8_PiPS5_21rocsparse_index_base_SD_SD_b.num_vgpr, 45
	.set _ZN9rocsparseL39bsrgeam_wf_per_row_multipass_2_3_kernelILj256ELj2ELj32E21rocsparse_complex_numIfEEEv20rocsparse_direction_iiiNS_24const_host_device_scalarIT2_EEPKiS8_PKS5_S6_S8_S8_SA_S8_PiPS5_21rocsparse_index_base_SD_SD_b.num_agpr, 0
	.set _ZN9rocsparseL39bsrgeam_wf_per_row_multipass_2_3_kernelILj256ELj2ELj32E21rocsparse_complex_numIfEEEv20rocsparse_direction_iiiNS_24const_host_device_scalarIT2_EEPKiS8_PKS5_S6_S8_S8_SA_S8_PiPS5_21rocsparse_index_base_SD_SD_b.numbered_sgpr, 36
	.set _ZN9rocsparseL39bsrgeam_wf_per_row_multipass_2_3_kernelILj256ELj2ELj32E21rocsparse_complex_numIfEEEv20rocsparse_direction_iiiNS_24const_host_device_scalarIT2_EEPKiS8_PKS5_S6_S8_S8_SA_S8_PiPS5_21rocsparse_index_base_SD_SD_b.num_named_barrier, 0
	.set _ZN9rocsparseL39bsrgeam_wf_per_row_multipass_2_3_kernelILj256ELj2ELj32E21rocsparse_complex_numIfEEEv20rocsparse_direction_iiiNS_24const_host_device_scalarIT2_EEPKiS8_PKS5_S6_S8_S8_SA_S8_PiPS5_21rocsparse_index_base_SD_SD_b.private_seg_size, 0
	.set _ZN9rocsparseL39bsrgeam_wf_per_row_multipass_2_3_kernelILj256ELj2ELj32E21rocsparse_complex_numIfEEEv20rocsparse_direction_iiiNS_24const_host_device_scalarIT2_EEPKiS8_PKS5_S6_S8_S8_SA_S8_PiPS5_21rocsparse_index_base_SD_SD_b.uses_vcc, 1
	.set _ZN9rocsparseL39bsrgeam_wf_per_row_multipass_2_3_kernelILj256ELj2ELj32E21rocsparse_complex_numIfEEEv20rocsparse_direction_iiiNS_24const_host_device_scalarIT2_EEPKiS8_PKS5_S6_S8_S8_SA_S8_PiPS5_21rocsparse_index_base_SD_SD_b.uses_flat_scratch, 0
	.set _ZN9rocsparseL39bsrgeam_wf_per_row_multipass_2_3_kernelILj256ELj2ELj32E21rocsparse_complex_numIfEEEv20rocsparse_direction_iiiNS_24const_host_device_scalarIT2_EEPKiS8_PKS5_S6_S8_S8_SA_S8_PiPS5_21rocsparse_index_base_SD_SD_b.has_dyn_sized_stack, 0
	.set _ZN9rocsparseL39bsrgeam_wf_per_row_multipass_2_3_kernelILj256ELj2ELj32E21rocsparse_complex_numIfEEEv20rocsparse_direction_iiiNS_24const_host_device_scalarIT2_EEPKiS8_PKS5_S6_S8_S8_SA_S8_PiPS5_21rocsparse_index_base_SD_SD_b.has_recursion, 0
	.set _ZN9rocsparseL39bsrgeam_wf_per_row_multipass_2_3_kernelILj256ELj2ELj32E21rocsparse_complex_numIfEEEv20rocsparse_direction_iiiNS_24const_host_device_scalarIT2_EEPKiS8_PKS5_S6_S8_S8_SA_S8_PiPS5_21rocsparse_index_base_SD_SD_b.has_indirect_call, 0
	.section	.AMDGPU.csdata,"",@progbits
; Kernel info:
; codeLenInByte = 2092
; TotalNumSgprs: 40
; NumVgprs: 45
; ScratchSize: 0
; MemoryBound: 0
; FloatMode: 240
; IeeeMode: 1
; LDSByteSize: 8448 bytes/workgroup (compile time only)
; SGPRBlocks: 10
; VGPRBlocks: 11
; NumSGPRsForWavesPerEU: 81
; NumVGPRsForWavesPerEU: 45
; Occupancy: 5
; WaveLimiterHint : 1
; COMPUTE_PGM_RSRC2:SCRATCH_EN: 0
; COMPUTE_PGM_RSRC2:USER_SGPR: 6
; COMPUTE_PGM_RSRC2:TRAP_HANDLER: 0
; COMPUTE_PGM_RSRC2:TGID_X_EN: 1
; COMPUTE_PGM_RSRC2:TGID_Y_EN: 0
; COMPUTE_PGM_RSRC2:TGID_Z_EN: 0
; COMPUTE_PGM_RSRC2:TIDIG_COMP_CNT: 0
	.section	.text._ZN9rocsparseL39bsrgeam_wf_per_row_multipass_2_3_kernelILj256ELj2ELj64E21rocsparse_complex_numIfEEEv20rocsparse_direction_iiiNS_24const_host_device_scalarIT2_EEPKiS8_PKS5_S6_S8_S8_SA_S8_PiPS5_21rocsparse_index_base_SD_SD_b,"axG",@progbits,_ZN9rocsparseL39bsrgeam_wf_per_row_multipass_2_3_kernelILj256ELj2ELj64E21rocsparse_complex_numIfEEEv20rocsparse_direction_iiiNS_24const_host_device_scalarIT2_EEPKiS8_PKS5_S6_S8_S8_SA_S8_PiPS5_21rocsparse_index_base_SD_SD_b,comdat
	.globl	_ZN9rocsparseL39bsrgeam_wf_per_row_multipass_2_3_kernelILj256ELj2ELj64E21rocsparse_complex_numIfEEEv20rocsparse_direction_iiiNS_24const_host_device_scalarIT2_EEPKiS8_PKS5_S6_S8_S8_SA_S8_PiPS5_21rocsparse_index_base_SD_SD_b ; -- Begin function _ZN9rocsparseL39bsrgeam_wf_per_row_multipass_2_3_kernelILj256ELj2ELj64E21rocsparse_complex_numIfEEEv20rocsparse_direction_iiiNS_24const_host_device_scalarIT2_EEPKiS8_PKS5_S6_S8_S8_SA_S8_PiPS5_21rocsparse_index_base_SD_SD_b
	.p2align	8
	.type	_ZN9rocsparseL39bsrgeam_wf_per_row_multipass_2_3_kernelILj256ELj2ELj64E21rocsparse_complex_numIfEEEv20rocsparse_direction_iiiNS_24const_host_device_scalarIT2_EEPKiS8_PKS5_S6_S8_S8_SA_S8_PiPS5_21rocsparse_index_base_SD_SD_b,@function
_ZN9rocsparseL39bsrgeam_wf_per_row_multipass_2_3_kernelILj256ELj2ELj64E21rocsparse_complex_numIfEEEv20rocsparse_direction_iiiNS_24const_host_device_scalarIT2_EEPKiS8_PKS5_S6_S8_S8_SA_S8_PiPS5_21rocsparse_index_base_SD_SD_b: ; @_ZN9rocsparseL39bsrgeam_wf_per_row_multipass_2_3_kernelILj256ELj2ELj64E21rocsparse_complex_numIfEEEv20rocsparse_direction_iiiNS_24const_host_device_scalarIT2_EEPKiS8_PKS5_S6_S8_S8_SA_S8_PiPS5_21rocsparse_index_base_SD_SD_b
; %bb.0:
	s_load_dwordx4 s[8:11], s[4:5], 0x68
	s_load_dwordx2 s[28:29], s[4:5], 0x10
	s_load_dwordx2 s[30:31], s[4:5], 0x30
	s_waitcnt lgkmcnt(0)
	s_bitcmp1_b32 s11, 0
	s_cselect_b64 s[0:1], -1, 0
	s_xor_b64 s[2:3], s[0:1], -1
	s_and_b64 vcc, exec, s[0:1]
	s_mov_b32 s33, s28
	s_cbranch_vccz .LBB17_41
; %bb.1:
	v_cndmask_b32_e64 v1, 0, 1, s[2:3]
	v_cmp_ne_u32_e64 s[0:1], 1, v1
	s_andn2_b64 vcc, exec, s[2:3]
	s_cbranch_vccz .LBB17_42
.LBB17_2:
	s_and_b64 vcc, exec, s[0:1]
	s_mov_b32 s28, s30
	s_cbranch_vccz .LBB17_43
.LBB17_3:
	s_and_b64 vcc, exec, s[0:1]
	s_cbranch_vccnz .LBB17_5
.LBB17_4:
	s_load_dword s31, s[30:31], 0x4
.LBB17_5:
	s_nop 0
	s_load_dwordx4 s[12:15], s[4:5], 0x0
	s_lshl_b32 s0, s6, 2
	v_lshrrev_b32_e32 v8, 6, v0
	s_and_b32 s0, s0, 0x3fffffc
	v_or_b32_e32 v1, s0, v8
	s_waitcnt lgkmcnt(0)
	v_cmp_gt_i32_e32 vcc, s13, v1
	s_and_saveexec_b64 s[0:1], vcc
	s_cbranch_execz .LBB17_40
; %bb.6:
	s_load_dwordx4 s[16:19], s[4:5], 0x18
	s_load_dwordx4 s[20:23], s[4:5], 0x38
	s_load_dwordx2 s[0:1], s[4:5], 0x50
	v_lshlrev_b32_e32 v5, 2, v1
	s_waitcnt lgkmcnt(0)
	global_load_dwordx2 v[1:2], v5, s[16:17]
	global_load_dwordx2 v[3:4], v5, s[20:21]
	global_load_dword v9, v5, s[0:1]
	s_waitcnt vmcnt(2)
	v_subrev_u32_e32 v5, s8, v1
	v_cmp_lt_i32_e32 vcc, v1, v2
	v_mov_b32_e32 v1, s14
	s_and_saveexec_b64 s[0:1], vcc
	s_cbranch_execz .LBB17_8
; %bb.7:
	v_ashrrev_i32_e32 v6, 31, v5
	v_lshlrev_b64 v[6:7], 2, v[5:6]
	v_mov_b32_e32 v1, s19
	v_add_co_u32_e32 v6, vcc, s18, v6
	v_addc_co_u32_e32 v7, vcc, v1, v7, vcc
	global_load_dword v1, v[6:7], off
	s_waitcnt vmcnt(0)
	v_subrev_u32_e32 v1, s8, v1
.LBB17_8:
	s_or_b64 exec, exec, s[0:1]
	s_load_dwordx4 s[24:27], s[4:5], 0x58
	s_load_dwordx2 s[6:7], s[4:5], 0x28
	s_load_dwordx2 s[16:17], s[4:5], 0x48
	s_waitcnt vmcnt(1)
	v_subrev_u32_e32 v6, s9, v3
	v_cmp_lt_i32_e32 vcc, v3, v4
	v_mov_b32_e32 v3, s14
	s_and_saveexec_b64 s[0:1], vcc
	s_cbranch_execz .LBB17_10
; %bb.9:
	v_ashrrev_i32_e32 v7, 31, v6
	v_lshlrev_b64 v[10:11], 2, v[6:7]
	v_mov_b32_e32 v3, s23
	v_add_co_u32_e32 v10, vcc, s22, v10
	v_addc_co_u32_e32 v11, vcc, v3, v11, vcc
	global_load_dword v3, v[10:11], off
	s_waitcnt vmcnt(0)
	v_subrev_u32_e32 v3, s9, v3
.LBB17_10:
	s_or_b64 exec, exec, s[0:1]
	v_min_i32_e32 v35, v3, v1
	v_mbcnt_lo_u32_b32 v1, -1, 0
	v_and_b32_e32 v7, 0xc0, v0
	v_and_b32_e32 v0, 63, v0
	v_mbcnt_hi_u32_b32 v1, -1, v1
	v_subrev_u32_e32 v20, s8, v2
	v_and_b32_e32 v2, 64, v1
	v_xor_b32_e32 v3, 63, v0
	v_add_u32_e32 v2, 64, v2
	v_lshrrev_b64 v[12:13], v3, -1
	v_xor_b32_e32 v3, 32, v1
	v_cmp_lt_i32_e32 vcc, v3, v2
	v_cndmask_b32_e32 v3, v1, v3, vcc
	v_lshlrev_b32_e32 v25, 2, v3
	v_xor_b32_e32 v3, 16, v1
	v_cmp_lt_i32_e32 vcc, v3, v2
	v_cndmask_b32_e32 v3, v1, v3, vcc
	v_lshlrev_b32_e32 v26, 2, v3
	;; [unrolled: 4-line block ×5, first 2 shown]
	v_xor_b32_e32 v3, 1, v1
	s_cmp_lg_u32 s12, 0
	v_cmp_lt_i32_e32 vcc, v3, v2
	v_or_b32_e32 v18, 0x2000, v7
	v_lshlrev_b32_e32 v19, 11, v8
	s_mov_b32 s0, 0
	s_cselect_b64 s[20:21], -1, 0
	s_cmp_eq_u32 s12, 0
	v_cndmask_b32_e32 v1, v1, v3, vcc
	v_subrev_u32_e32 v21, s9, v4
	s_waitcnt vmcnt(0)
	v_subrev_u32_e32 v22, s10, v9
	v_add_u32_e32 v8, v5, v0
	v_add_u32_e32 v10, v6, v0
	v_lshl_or_b32 v23, v0, 5, v19
	v_add_u32_e32 v24, s10, v0
	v_lshlrev_b32_e32 v30, 2, v1
	s_cselect_b32 s10, 8, 16
	s_cselect_b32 s11, 16, 8
	v_add_u32_e32 v31, v18, v0
	s_mov_b32 s1, s0
	s_mov_b32 s2, s0
	;; [unrolled: 1-line block ×3, first 2 shown]
	v_mov_b32_e32 v0, s0
	v_cndmask_b32_e64 v4, 0, 1, s[20:21]
	s_mov_b64 s[4:5], 0
	v_mov_b32_e32 v15, 0
	v_mov_b32_e32 v1, s1
	;; [unrolled: 1-line block ×5, first 2 shown]
	v_cmp_ne_u32_e64 s[0:1], 1, v4
	v_add_u32_e32 v33, s10, v23
	v_add_u32_e32 v34, s11, v23
	s_branch .LBB17_12
.LBB17_11:                              ;   in Loop: Header=BB17_12 Depth=1
	s_or_b64 exec, exec, s[10:11]
	ds_bpermute_b32 v4, v25, v36
	s_bcnt1_i32_b64 s2, vcc
	v_add_u32_e32 v22, s2, v22
	s_waitcnt lgkmcnt(0)
	v_min_i32_e32 v4, v4, v36
	ds_bpermute_b32 v5, v26, v4
	s_waitcnt lgkmcnt(0)
	v_min_i32_e32 v4, v5, v4
	ds_bpermute_b32 v5, v27, v4
	;; [unrolled: 3-line block ×5, first 2 shown]
	s_waitcnt lgkmcnt(0)
	v_min_i32_e32 v35, v5, v4
	v_cmp_le_i32_e32 vcc, s14, v35
	s_or_b64 s[4:5], vcc, s[4:5]
	s_andn2_b64 exec, exec, s[4:5]
	s_cbranch_execz .LBB17_40
.LBB17_12:                              ; =>This Loop Header: Depth=1
                                        ;     Child Loop BB17_15 Depth 2
                                        ;     Child Loop BB17_28 Depth 2
	v_cmp_lt_i32_e32 vcc, v8, v20
	v_mov_b32_e32 v36, s14
	ds_write_b8 v31, v15
	ds_write_b128 v23, v[0:3]
	ds_write_b128 v23, v[0:3] offset:16
	s_waitcnt lgkmcnt(0)
	s_and_saveexec_b64 s[10:11], vcc
	s_cbranch_execz .LBB17_25
; %bb.13:                               ;   in Loop: Header=BB17_12 Depth=1
	v_lshlrev_b32_e32 v14, 2, v8
	s_mov_b64 s[12:13], 0
	v_mov_b32_e32 v36, s14
	s_branch .LBB17_15
.LBB17_14:                              ;   in Loop: Header=BB17_15 Depth=2
	s_or_b64 exec, exec, s[34:35]
	s_and_b64 s[2:3], exec, s[20:21]
	s_or_b64 s[12:13], s[2:3], s[12:13]
	s_andn2_b64 exec, exec, s[12:13]
	s_cbranch_execz .LBB17_24
.LBB17_15:                              ;   Parent Loop BB17_12 Depth=1
                                        ; =>  This Inner Loop Header: Depth=2
	v_ashrrev_i32_e32 v9, 31, v8
	v_lshlrev_b64 v[4:5], 2, v[8:9]
	v_mov_b32_e32 v6, s19
	v_add_co_u32_e32 v4, vcc, s18, v4
	v_addc_co_u32_e32 v5, vcc, v6, v5, vcc
	global_load_dword v4, v[4:5], off
	s_waitcnt vmcnt(0)
	v_subrev_u32_e32 v4, s8, v4
	v_sub_u32_e32 v6, v4, v35
	v_cmp_gt_u32_e64 s[2:3], 64, v6
	v_cmp_lt_u32_e32 vcc, 63, v6
	s_and_saveexec_b64 s[20:21], vcc
	s_xor_b64 s[20:21], exec, s[20:21]
; %bb.16:                               ;   in Loop: Header=BB17_15 Depth=2
	v_min_i32_e32 v36, v4, v36
                                        ; implicit-def: $vgpr6
; %bb.17:                               ;   in Loop: Header=BB17_15 Depth=2
	s_andn2_saveexec_b64 s[20:21], s[20:21]
	s_cbranch_execz .LBB17_22
; %bb.18:                               ;   in Loop: Header=BB17_15 Depth=2
	v_lshlrev_b64 v[4:5], 3, v[14:15]
	v_mov_b32_e32 v7, s7
	v_add_co_u32_e32 v4, vcc, s6, v4
	v_addc_co_u32_e32 v5, vcc, v7, v5, vcc
	global_load_dwordx2 v[16:17], v[4:5], off
	v_add_u32_e32 v7, v18, v6
	v_lshlrev_b32_e32 v6, 5, v6
	s_and_b64 vcc, exec, s[0:1]
	v_add_u32_e32 v6, v19, v6
	s_mov_b64 s[34:35], -1
	ds_write_b8 v7, v32
	s_waitcnt vmcnt(0)
	v_mul_f32_e64 v37, v17, -s29
	v_mul_f32_e32 v38, s33, v17
	v_fmac_f32_e32 v37, s33, v16
	v_fmac_f32_e32 v38, s29, v16
	ds_write_b64 v6, v[37:38]
	s_cbranch_vccnz .LBB17_20
; %bb.19:                               ;   in Loop: Header=BB17_15 Depth=2
	global_load_dwordx4 v[37:40], v[4:5], off offset:8
	global_load_dwordx2 v[16:17], v[4:5], off offset:24
	s_mov_b64 s[34:35], 0
	s_waitcnt vmcnt(1)
	v_mul_f32_e64 v41, v40, -s29
	v_mul_f32_e32 v42, s33, v40
	v_mul_f32_e64 v43, v38, -s29
	v_mul_f32_e32 v44, s33, v38
	s_waitcnt vmcnt(0)
	v_mul_f32_e64 v45, v17, -s29
	v_mul_f32_e32 v46, s33, v17
	v_fmac_f32_e32 v41, s33, v39
	v_fmac_f32_e32 v42, s29, v39
	;; [unrolled: 1-line block ×6, first 2 shown]
	ds_write2_b64 v6, v[41:42], v[43:44] offset0:1 offset1:2
	ds_write_b64 v6, v[45:46] offset:24
.LBB17_20:                              ;   in Loop: Header=BB17_15 Depth=2
	s_andn2_b64 vcc, exec, s[34:35]
	s_cbranch_vccnz .LBB17_22
; %bb.21:                               ;   in Loop: Header=BB17_15 Depth=2
	global_load_dwordx4 v[37:40], v[4:5], off offset:8
	global_load_dwordx2 v[16:17], v[4:5], off offset:24
	s_waitcnt vmcnt(1)
	v_mul_f32_e64 v4, v38, -s29
	v_mul_f32_e32 v5, s33, v38
	v_mul_f32_e64 v41, v40, -s29
	v_mul_f32_e32 v42, s33, v40
	s_waitcnt vmcnt(0)
	v_mul_f32_e64 v43, v17, -s29
	v_mul_f32_e32 v44, s33, v17
	v_fmac_f32_e32 v4, s33, v37
	v_fmac_f32_e32 v5, s29, v37
	;; [unrolled: 1-line block ×6, first 2 shown]
	ds_write2_b64 v6, v[4:5], v[41:42] offset0:1 offset1:2
	ds_write_b64 v6, v[43:44] offset:24
.LBB17_22:                              ;   in Loop: Header=BB17_15 Depth=2
	s_or_b64 exec, exec, s[20:21]
	s_mov_b64 s[20:21], -1
	s_and_saveexec_b64 s[34:35], s[2:3]
	s_cbranch_execz .LBB17_14
; %bb.23:                               ;   in Loop: Header=BB17_15 Depth=2
	v_add_u32_e32 v8, 64, v8
	v_cmp_ge_i32_e32 vcc, v8, v20
	v_add_u32_e32 v14, 0x100, v14
	s_orn2_b64 s[20:21], vcc, exec
	s_branch .LBB17_14
.LBB17_24:                              ;   in Loop: Header=BB17_12 Depth=1
	s_or_b64 exec, exec, s[12:13]
.LBB17_25:                              ;   in Loop: Header=BB17_12 Depth=1
	s_or_b64 exec, exec, s[10:11]
	v_cmp_lt_i32_e32 vcc, v10, v21
	s_waitcnt lgkmcnt(0)
	s_and_saveexec_b64 s[10:11], vcc
	s_cbranch_execz .LBB17_38
; %bb.26:                               ;   in Loop: Header=BB17_12 Depth=1
	v_lshlrev_b32_e32 v14, 2, v10
	s_mov_b64 s[12:13], 0
	s_branch .LBB17_28
.LBB17_27:                              ;   in Loop: Header=BB17_28 Depth=2
	s_or_b64 exec, exec, s[34:35]
	s_and_b64 s[2:3], exec, s[20:21]
	s_or_b64 s[12:13], s[2:3], s[12:13]
	s_andn2_b64 exec, exec, s[12:13]
	s_cbranch_execz .LBB17_37
.LBB17_28:                              ;   Parent Loop BB17_12 Depth=1
                                        ; =>  This Inner Loop Header: Depth=2
	v_ashrrev_i32_e32 v11, 31, v10
	v_lshlrev_b64 v[4:5], 2, v[10:11]
	v_mov_b32_e32 v6, s23
	v_add_co_u32_e32 v4, vcc, s22, v4
	v_addc_co_u32_e32 v5, vcc, v6, v5, vcc
	global_load_dword v4, v[4:5], off
	s_waitcnt vmcnt(0)
	v_subrev_u32_e32 v4, s9, v4
	v_sub_u32_e32 v11, v4, v35
	v_cmp_gt_u32_e64 s[2:3], 64, v11
	v_cmp_lt_u32_e32 vcc, 63, v11
	s_and_saveexec_b64 s[20:21], vcc
	s_xor_b64 s[20:21], exec, s[20:21]
; %bb.29:                               ;   in Loop: Header=BB17_28 Depth=2
	v_min_i32_e32 v36, v4, v36
                                        ; implicit-def: $vgpr11
; %bb.30:                               ;   in Loop: Header=BB17_28 Depth=2
	s_andn2_saveexec_b64 s[20:21], s[20:21]
	s_cbranch_execz .LBB17_35
; %bb.31:                               ;   in Loop: Header=BB17_28 Depth=2
	v_lshlrev_b64 v[4:5], 3, v[14:15]
	v_mov_b32_e32 v6, s17
	v_add_co_u32_e32 v16, vcc, s16, v4
	v_addc_co_u32_e32 v17, vcc, v6, v5, vcc
	global_load_dwordx2 v[37:38], v[16:17], off
	v_lshlrev_b32_e32 v4, 5, v11
	v_add_u32_e32 v9, v19, v4
	ds_read_b128 v[4:7], v9
	v_add_u32_e32 v11, v18, v11
	s_and_b64 vcc, exec, s[0:1]
	s_mov_b64 s[34:35], -1
	ds_write_b8 v11, v32
	s_waitcnt vmcnt(0) lgkmcnt(1)
	v_fma_f32 v4, s28, v37, v4
	v_fma_f32 v5, s31, v37, v5
	v_fma_f32 v4, -s31, v38, v4
	v_fmac_f32_e32 v5, s28, v38
	ds_write_b64 v9, v[4:5]
	s_cbranch_vccnz .LBB17_33
; %bb.32:                               ;   in Loop: Header=BB17_28 Depth=2
	global_load_dwordx4 v[37:40], v[16:17], off offset:8
	global_load_dwordx2 v[4:5], v[16:17], off offset:24
	ds_read_b128 v[41:44], v9 offset:16
	s_mov_b64 s[34:35], 0
	s_waitcnt vmcnt(1)
	v_fma_f32 v11, s28, v39, v6
	v_fma_f32 v46, s31, v39, v7
	s_waitcnt lgkmcnt(0)
	v_fma_f32 v39, s28, v37, v41
	v_fma_f32 v41, s31, v37, v42
	s_waitcnt vmcnt(0)
	v_fma_f32 v37, s28, v4, v43
	v_fmac_f32_e32 v44, s31, v4
	v_fma_f32 v45, -s31, v40, v11
	v_fmac_f32_e32 v46, s28, v40
	v_fma_f32 v40, -s31, v38, v39
	;; [unrolled: 2-line block ×3, first 2 shown]
	v_fmac_f32_e32 v44, s28, v5
	ds_write2_b64 v9, v[45:46], v[40:41] offset0:1 offset1:2
	ds_write_b64 v9, v[43:44] offset:24
.LBB17_33:                              ;   in Loop: Header=BB17_28 Depth=2
	s_andn2_b64 vcc, exec, s[34:35]
	s_cbranch_vccnz .LBB17_35
; %bb.34:                               ;   in Loop: Header=BB17_28 Depth=2
	global_load_dwordx4 v[37:40], v[16:17], off offset:8
	global_load_dwordx2 v[4:5], v[16:17], off offset:24
	ds_read_b128 v[41:44], v9 offset:16
	s_waitcnt vmcnt(1)
	v_fmac_f32_e32 v7, s31, v37
	v_fma_f32 v6, s28, v37, v6
	s_waitcnt lgkmcnt(0)
	v_fma_f32 v11, s28, v39, v41
	v_fma_f32 v17, s31, v39, v42
	s_waitcnt vmcnt(0)
	v_fma_f32 v37, s28, v4, v43
	v_fmac_f32_e32 v44, s31, v4
	v_fmac_f32_e32 v7, s28, v38
	v_fma_f32 v4, -s31, v38, v6
	v_fma_f32 v16, -s31, v40, v11
	v_fmac_f32_e32 v17, s28, v40
	v_fma_f32 v43, -s31, v5, v37
	v_fmac_f32_e32 v44, s28, v5
	v_mov_b32_e32 v5, v7
	ds_write2_b64 v9, v[4:5], v[16:17] offset0:1 offset1:2
	ds_write_b64 v9, v[43:44] offset:24
.LBB17_35:                              ;   in Loop: Header=BB17_28 Depth=2
	s_or_b64 exec, exec, s[20:21]
	s_mov_b64 s[20:21], -1
	s_and_saveexec_b64 s[34:35], s[2:3]
	s_cbranch_execz .LBB17_27
; %bb.36:                               ;   in Loop: Header=BB17_28 Depth=2
	v_add_u32_e32 v10, 64, v10
	v_cmp_ge_i32_e32 vcc, v10, v21
	v_add_u32_e32 v14, 0x100, v14
	s_orn2_b64 s[20:21], vcc, exec
	s_branch .LBB17_27
.LBB17_37:                              ;   in Loop: Header=BB17_12 Depth=1
	s_or_b64 exec, exec, s[12:13]
.LBB17_38:                              ;   in Loop: Header=BB17_12 Depth=1
	s_or_b64 exec, exec, s[10:11]
	s_waitcnt lgkmcnt(0)
	ds_read_u8 v4, v31
	s_waitcnt lgkmcnt(0)
	v_and_b32_e32 v5, 1, v4
	v_cmp_eq_u32_e64 s[2:3], 1, v5
	v_cmp_ne_u16_e32 vcc, 0, v4
	s_and_saveexec_b64 s[10:11], s[2:3]
	s_cbranch_execz .LBB17_11
; %bb.39:                               ;   in Loop: Header=BB17_12 Depth=1
	v_and_b32_e32 v5, vcc_lo, v12
	v_and_b32_e32 v4, vcc_hi, v13
	v_bcnt_u32_b32 v5, v5, 0
	v_bcnt_u32_b32 v4, v4, v5
	v_add3_u32 v16, v22, v4, -1
	v_ashrrev_i32_e32 v17, 31, v16
	v_lshlrev_b64 v[4:5], 2, v[16:17]
	v_mov_b32_e32 v6, s25
	v_add_co_u32_e64 v37, s[2:3], s24, v4
	v_addc_co_u32_e64 v38, s[2:3], v6, v5, s[2:3]
	ds_read2_b64 v[4:7], v23 offset1:3
	v_add_u32_e32 v9, v24, v35
	global_store_dword v[37:38], v9, off
	v_lshlrev_b32_e32 v14, 2, v16
	v_lshlrev_b64 v[16:17], 3, v[14:15]
	s_waitcnt lgkmcnt(0)
	v_mov_b32_e32 v37, v4
	v_mov_b32_e32 v38, v5
	ds_read_b64 v[39:40], v33
	ds_read_b64 v[4:5], v34
	v_mov_b32_e32 v9, s27
	v_add_co_u32_e64 v16, s[2:3], s26, v16
	v_addc_co_u32_e64 v17, s[2:3], v9, v17, s[2:3]
	s_waitcnt lgkmcnt(1)
	global_store_dwordx4 v[16:17], v[37:40], off
	s_waitcnt lgkmcnt(0)
	global_store_dwordx4 v[16:17], v[4:7], off offset:16
	s_branch .LBB17_11
.LBB17_40:
	s_endpgm
.LBB17_41:
	s_load_dword s33, s[28:29], 0x0
	v_cndmask_b32_e64 v1, 0, 1, s[2:3]
	v_cmp_ne_u32_e64 s[0:1], 1, v1
	s_andn2_b64 vcc, exec, s[2:3]
	s_cbranch_vccnz .LBB17_2
.LBB17_42:
	s_load_dword s29, s[28:29], 0x4
	s_and_b64 vcc, exec, s[0:1]
	s_mov_b32 s28, s30
	s_cbranch_vccnz .LBB17_3
.LBB17_43:
	s_load_dword s28, s[30:31], 0x0
	s_and_b64 vcc, exec, s[0:1]
	s_cbranch_vccz .LBB17_4
	s_branch .LBB17_5
	.section	.rodata,"a",@progbits
	.p2align	6, 0x0
	.amdhsa_kernel _ZN9rocsparseL39bsrgeam_wf_per_row_multipass_2_3_kernelILj256ELj2ELj64E21rocsparse_complex_numIfEEEv20rocsparse_direction_iiiNS_24const_host_device_scalarIT2_EEPKiS8_PKS5_S6_S8_S8_SA_S8_PiPS5_21rocsparse_index_base_SD_SD_b
		.amdhsa_group_segment_fixed_size 8448
		.amdhsa_private_segment_fixed_size 0
		.amdhsa_kernarg_size 120
		.amdhsa_user_sgpr_count 6
		.amdhsa_user_sgpr_private_segment_buffer 1
		.amdhsa_user_sgpr_dispatch_ptr 0
		.amdhsa_user_sgpr_queue_ptr 0
		.amdhsa_user_sgpr_kernarg_segment_ptr 1
		.amdhsa_user_sgpr_dispatch_id 0
		.amdhsa_user_sgpr_flat_scratch_init 0
		.amdhsa_user_sgpr_private_segment_size 0
		.amdhsa_uses_dynamic_stack 0
		.amdhsa_system_sgpr_private_segment_wavefront_offset 0
		.amdhsa_system_sgpr_workgroup_id_x 1
		.amdhsa_system_sgpr_workgroup_id_y 0
		.amdhsa_system_sgpr_workgroup_id_z 0
		.amdhsa_system_sgpr_workgroup_info 0
		.amdhsa_system_vgpr_workitem_id 0
		.amdhsa_next_free_vgpr 47
		.amdhsa_next_free_sgpr 77
		.amdhsa_reserve_vcc 1
		.amdhsa_reserve_flat_scratch 0
		.amdhsa_float_round_mode_32 0
		.amdhsa_float_round_mode_16_64 0
		.amdhsa_float_denorm_mode_32 3
		.amdhsa_float_denorm_mode_16_64 3
		.amdhsa_dx10_clamp 1
		.amdhsa_ieee_mode 1
		.amdhsa_fp16_overflow 0
		.amdhsa_exception_fp_ieee_invalid_op 0
		.amdhsa_exception_fp_denorm_src 0
		.amdhsa_exception_fp_ieee_div_zero 0
		.amdhsa_exception_fp_ieee_overflow 0
		.amdhsa_exception_fp_ieee_underflow 0
		.amdhsa_exception_fp_ieee_inexact 0
		.amdhsa_exception_int_div_zero 0
	.end_amdhsa_kernel
	.section	.text._ZN9rocsparseL39bsrgeam_wf_per_row_multipass_2_3_kernelILj256ELj2ELj64E21rocsparse_complex_numIfEEEv20rocsparse_direction_iiiNS_24const_host_device_scalarIT2_EEPKiS8_PKS5_S6_S8_S8_SA_S8_PiPS5_21rocsparse_index_base_SD_SD_b,"axG",@progbits,_ZN9rocsparseL39bsrgeam_wf_per_row_multipass_2_3_kernelILj256ELj2ELj64E21rocsparse_complex_numIfEEEv20rocsparse_direction_iiiNS_24const_host_device_scalarIT2_EEPKiS8_PKS5_S6_S8_S8_SA_S8_PiPS5_21rocsparse_index_base_SD_SD_b,comdat
.Lfunc_end17:
	.size	_ZN9rocsparseL39bsrgeam_wf_per_row_multipass_2_3_kernelILj256ELj2ELj64E21rocsparse_complex_numIfEEEv20rocsparse_direction_iiiNS_24const_host_device_scalarIT2_EEPKiS8_PKS5_S6_S8_S8_SA_S8_PiPS5_21rocsparse_index_base_SD_SD_b, .Lfunc_end17-_ZN9rocsparseL39bsrgeam_wf_per_row_multipass_2_3_kernelILj256ELj2ELj64E21rocsparse_complex_numIfEEEv20rocsparse_direction_iiiNS_24const_host_device_scalarIT2_EEPKiS8_PKS5_S6_S8_S8_SA_S8_PiPS5_21rocsparse_index_base_SD_SD_b
                                        ; -- End function
	.set _ZN9rocsparseL39bsrgeam_wf_per_row_multipass_2_3_kernelILj256ELj2ELj64E21rocsparse_complex_numIfEEEv20rocsparse_direction_iiiNS_24const_host_device_scalarIT2_EEPKiS8_PKS5_S6_S8_S8_SA_S8_PiPS5_21rocsparse_index_base_SD_SD_b.num_vgpr, 47
	.set _ZN9rocsparseL39bsrgeam_wf_per_row_multipass_2_3_kernelILj256ELj2ELj64E21rocsparse_complex_numIfEEEv20rocsparse_direction_iiiNS_24const_host_device_scalarIT2_EEPKiS8_PKS5_S6_S8_S8_SA_S8_PiPS5_21rocsparse_index_base_SD_SD_b.num_agpr, 0
	.set _ZN9rocsparseL39bsrgeam_wf_per_row_multipass_2_3_kernelILj256ELj2ELj64E21rocsparse_complex_numIfEEEv20rocsparse_direction_iiiNS_24const_host_device_scalarIT2_EEPKiS8_PKS5_S6_S8_S8_SA_S8_PiPS5_21rocsparse_index_base_SD_SD_b.numbered_sgpr, 36
	.set _ZN9rocsparseL39bsrgeam_wf_per_row_multipass_2_3_kernelILj256ELj2ELj64E21rocsparse_complex_numIfEEEv20rocsparse_direction_iiiNS_24const_host_device_scalarIT2_EEPKiS8_PKS5_S6_S8_S8_SA_S8_PiPS5_21rocsparse_index_base_SD_SD_b.num_named_barrier, 0
	.set _ZN9rocsparseL39bsrgeam_wf_per_row_multipass_2_3_kernelILj256ELj2ELj64E21rocsparse_complex_numIfEEEv20rocsparse_direction_iiiNS_24const_host_device_scalarIT2_EEPKiS8_PKS5_S6_S8_S8_SA_S8_PiPS5_21rocsparse_index_base_SD_SD_b.private_seg_size, 0
	.set _ZN9rocsparseL39bsrgeam_wf_per_row_multipass_2_3_kernelILj256ELj2ELj64E21rocsparse_complex_numIfEEEv20rocsparse_direction_iiiNS_24const_host_device_scalarIT2_EEPKiS8_PKS5_S6_S8_S8_SA_S8_PiPS5_21rocsparse_index_base_SD_SD_b.uses_vcc, 1
	.set _ZN9rocsparseL39bsrgeam_wf_per_row_multipass_2_3_kernelILj256ELj2ELj64E21rocsparse_complex_numIfEEEv20rocsparse_direction_iiiNS_24const_host_device_scalarIT2_EEPKiS8_PKS5_S6_S8_S8_SA_S8_PiPS5_21rocsparse_index_base_SD_SD_b.uses_flat_scratch, 0
	.set _ZN9rocsparseL39bsrgeam_wf_per_row_multipass_2_3_kernelILj256ELj2ELj64E21rocsparse_complex_numIfEEEv20rocsparse_direction_iiiNS_24const_host_device_scalarIT2_EEPKiS8_PKS5_S6_S8_S8_SA_S8_PiPS5_21rocsparse_index_base_SD_SD_b.has_dyn_sized_stack, 0
	.set _ZN9rocsparseL39bsrgeam_wf_per_row_multipass_2_3_kernelILj256ELj2ELj64E21rocsparse_complex_numIfEEEv20rocsparse_direction_iiiNS_24const_host_device_scalarIT2_EEPKiS8_PKS5_S6_S8_S8_SA_S8_PiPS5_21rocsparse_index_base_SD_SD_b.has_recursion, 0
	.set _ZN9rocsparseL39bsrgeam_wf_per_row_multipass_2_3_kernelILj256ELj2ELj64E21rocsparse_complex_numIfEEEv20rocsparse_direction_iiiNS_24const_host_device_scalarIT2_EEPKiS8_PKS5_S6_S8_S8_SA_S8_PiPS5_21rocsparse_index_base_SD_SD_b.has_indirect_call, 0
	.section	.AMDGPU.csdata,"",@progbits
; Kernel info:
; codeLenInByte = 2136
; TotalNumSgprs: 40
; NumVgprs: 47
; ScratchSize: 0
; MemoryBound: 0
; FloatMode: 240
; IeeeMode: 1
; LDSByteSize: 8448 bytes/workgroup (compile time only)
; SGPRBlocks: 10
; VGPRBlocks: 11
; NumSGPRsForWavesPerEU: 81
; NumVGPRsForWavesPerEU: 47
; Occupancy: 5
; WaveLimiterHint : 1
; COMPUTE_PGM_RSRC2:SCRATCH_EN: 0
; COMPUTE_PGM_RSRC2:USER_SGPR: 6
; COMPUTE_PGM_RSRC2:TRAP_HANDLER: 0
; COMPUTE_PGM_RSRC2:TGID_X_EN: 1
; COMPUTE_PGM_RSRC2:TGID_Y_EN: 0
; COMPUTE_PGM_RSRC2:TGID_Z_EN: 0
; COMPUTE_PGM_RSRC2:TIDIG_COMP_CNT: 0
	.section	.text._ZN9rocsparseL39bsrgeam_wf_per_row_multipass_2_3_kernelILj256ELj3ELj32E21rocsparse_complex_numIfEEEv20rocsparse_direction_iiiNS_24const_host_device_scalarIT2_EEPKiS8_PKS5_S6_S8_S8_SA_S8_PiPS5_21rocsparse_index_base_SD_SD_b,"axG",@progbits,_ZN9rocsparseL39bsrgeam_wf_per_row_multipass_2_3_kernelILj256ELj3ELj32E21rocsparse_complex_numIfEEEv20rocsparse_direction_iiiNS_24const_host_device_scalarIT2_EEPKiS8_PKS5_S6_S8_S8_SA_S8_PiPS5_21rocsparse_index_base_SD_SD_b,comdat
	.globl	_ZN9rocsparseL39bsrgeam_wf_per_row_multipass_2_3_kernelILj256ELj3ELj32E21rocsparse_complex_numIfEEEv20rocsparse_direction_iiiNS_24const_host_device_scalarIT2_EEPKiS8_PKS5_S6_S8_S8_SA_S8_PiPS5_21rocsparse_index_base_SD_SD_b ; -- Begin function _ZN9rocsparseL39bsrgeam_wf_per_row_multipass_2_3_kernelILj256ELj3ELj32E21rocsparse_complex_numIfEEEv20rocsparse_direction_iiiNS_24const_host_device_scalarIT2_EEPKiS8_PKS5_S6_S8_S8_SA_S8_PiPS5_21rocsparse_index_base_SD_SD_b
	.p2align	8
	.type	_ZN9rocsparseL39bsrgeam_wf_per_row_multipass_2_3_kernelILj256ELj3ELj32E21rocsparse_complex_numIfEEEv20rocsparse_direction_iiiNS_24const_host_device_scalarIT2_EEPKiS8_PKS5_S6_S8_S8_SA_S8_PiPS5_21rocsparse_index_base_SD_SD_b,@function
_ZN9rocsparseL39bsrgeam_wf_per_row_multipass_2_3_kernelILj256ELj3ELj32E21rocsparse_complex_numIfEEEv20rocsparse_direction_iiiNS_24const_host_device_scalarIT2_EEPKiS8_PKS5_S6_S8_S8_SA_S8_PiPS5_21rocsparse_index_base_SD_SD_b: ; @_ZN9rocsparseL39bsrgeam_wf_per_row_multipass_2_3_kernelILj256ELj3ELj32E21rocsparse_complex_numIfEEEv20rocsparse_direction_iiiNS_24const_host_device_scalarIT2_EEPKiS8_PKS5_S6_S8_S8_SA_S8_PiPS5_21rocsparse_index_base_SD_SD_b
; %bb.0:
	s_load_dwordx4 s[8:11], s[4:5], 0x68
	s_load_dwordx2 s[28:29], s[4:5], 0x10
	s_load_dwordx2 s[30:31], s[4:5], 0x30
	s_waitcnt lgkmcnt(0)
	s_bitcmp1_b32 s11, 0
	s_cselect_b64 s[0:1], -1, 0
	s_xor_b64 s[2:3], s[0:1], -1
	s_and_b64 vcc, exec, s[0:1]
	s_mov_b32 s33, s28
	s_cbranch_vccz .LBB18_41
; %bb.1:
	v_cndmask_b32_e64 v1, 0, 1, s[2:3]
	v_cmp_ne_u32_e64 s[0:1], 1, v1
	s_andn2_b64 vcc, exec, s[2:3]
	s_cbranch_vccz .LBB18_42
.LBB18_2:
	s_and_b64 vcc, exec, s[0:1]
	s_mov_b32 s28, s30
	s_cbranch_vccz .LBB18_43
.LBB18_3:
	s_and_b64 vcc, exec, s[0:1]
	s_cbranch_vccnz .LBB18_5
.LBB18_4:
	s_load_dword s31, s[30:31], 0x4
.LBB18_5:
	s_nop 0
	s_load_dwordx4 s[12:15], s[4:5], 0x0
	s_lshl_b32 s0, s6, 3
	v_lshrrev_b32_e32 v8, 5, v0
	s_and_b32 s0, s0, 0x7fffff8
	v_or_b32_e32 v1, s0, v8
	s_waitcnt lgkmcnt(0)
	v_cmp_gt_i32_e32 vcc, s13, v1
	s_and_saveexec_b64 s[0:1], vcc
	s_cbranch_execz .LBB18_40
; %bb.6:
	s_load_dwordx4 s[16:19], s[4:5], 0x18
	s_load_dwordx4 s[20:23], s[4:5], 0x38
	s_load_dwordx2 s[0:1], s[4:5], 0x50
	v_lshlrev_b32_e32 v5, 2, v1
	s_waitcnt lgkmcnt(0)
	global_load_dwordx2 v[1:2], v5, s[16:17]
	global_load_dwordx2 v[3:4], v5, s[20:21]
	global_load_dword v9, v5, s[0:1]
	s_waitcnt vmcnt(2)
	v_subrev_u32_e32 v5, s8, v1
	v_cmp_lt_i32_e32 vcc, v1, v2
	v_mov_b32_e32 v1, s14
	s_and_saveexec_b64 s[0:1], vcc
	s_cbranch_execz .LBB18_8
; %bb.7:
	v_ashrrev_i32_e32 v6, 31, v5
	v_lshlrev_b64 v[6:7], 2, v[5:6]
	v_mov_b32_e32 v1, s19
	v_add_co_u32_e32 v6, vcc, s18, v6
	v_addc_co_u32_e32 v7, vcc, v1, v7, vcc
	global_load_dword v1, v[6:7], off
	s_waitcnt vmcnt(0)
	v_subrev_u32_e32 v1, s8, v1
.LBB18_8:
	s_or_b64 exec, exec, s[0:1]
	s_load_dwordx4 s[24:27], s[4:5], 0x58
	s_load_dwordx2 s[6:7], s[4:5], 0x28
	s_load_dwordx2 s[16:17], s[4:5], 0x48
	s_waitcnt vmcnt(1)
	v_subrev_u32_e32 v6, s9, v3
	v_cmp_lt_i32_e32 vcc, v3, v4
	v_mov_b32_e32 v3, s14
	s_and_saveexec_b64 s[0:1], vcc
	s_cbranch_execz .LBB18_10
; %bb.9:
	v_ashrrev_i32_e32 v7, 31, v6
	v_lshlrev_b64 v[10:11], 2, v[6:7]
	v_mov_b32_e32 v3, s23
	v_add_co_u32_e32 v10, vcc, s22, v10
	v_addc_co_u32_e32 v11, vcc, v3, v11, vcc
	global_load_dword v3, v[10:11], off
	s_waitcnt vmcnt(0)
	v_subrev_u32_e32 v3, s9, v3
.LBB18_10:
	s_or_b64 exec, exec, s[0:1]
	v_and_b32_e32 v7, 0xe0, v0
	v_and_b32_e32 v0, 31, v0
	s_movk_i32 s0, 0x900
	v_min_i32_e32 v43, v3, v1
	v_mul_u32_u24_e32 v1, 0x48, v0
	v_mad_u32_u24 v32, v8, s0, v1
	v_mbcnt_lo_u32_b32 v1, -1, 0
	v_mbcnt_hi_u32_b32 v1, -1, v1
	v_subrev_u32_e32 v29, s8, v2
	v_and_b32_e32 v2, 64, v1
	v_xor_b32_e32 v3, 31, v0
	v_add_u32_e32 v2, 64, v2
	v_lshrrev_b32_e64 v33, v3, -1
	v_xor_b32_e32 v3, 16, v1
	v_cmp_lt_i32_e32 vcc, v3, v2
	v_cndmask_b32_e32 v3, v1, v3, vcc
	v_lshlrev_b32_e32 v35, 2, v3
	v_xor_b32_e32 v3, 8, v1
	v_cmp_lt_i32_e32 vcc, v3, v2
	v_cndmask_b32_e32 v3, v1, v3, vcc
	v_lshlrev_b32_e32 v36, 2, v3
	;; [unrolled: 4-line block ×3, first 2 shown]
	v_xor_b32_e32 v3, 2, v1
	v_cmp_lt_i32_e32 vcc, v3, v2
	v_cndmask_b32_e32 v3, v1, v3, vcc
	s_mov_b32 s0, 0
	s_cmp_lg_u32 s12, 0
	v_lshlrev_b32_e32 v38, 2, v3
	v_xor_b32_e32 v3, 1, v1
	v_or_b32_e32 v27, 0x4800, v7
	s_cselect_b64 s[2:3], -1, 0
	v_cmp_lt_i32_e32 vcc, v3, v2
	s_mov_b32 s1, s0
	s_mov_b32 s11, s0
	v_mul_u32_u24_e32 v28, 0x900, v8
	v_subrev_u32_e32 v30, s9, v4
	s_waitcnt vmcnt(0)
	v_subrev_u32_e32 v31, s10, v9
	v_add_u32_e32 v4, v5, v0
	v_add_u32_e32 v6, v6, v0
	v_mov_b32_e32 v8, 0
	s_cmp_eq_u32 s12, 0
	v_add_u32_e32 v34, s10, v0
	v_cndmask_b32_e32 v1, v1, v3, vcc
	v_add_u32_e32 v40, v27, v0
	s_mov_b32 s10, s0
	v_mov_b32_e32 v10, s1
	v_mov_b32_e32 v12, s11
	v_cndmask_b32_e64 v0, 0, 1, s[2:3]
	s_movk_i32 s15, 0x48
	v_lshlrev_b32_e32 v39, 2, v1
	s_cselect_b32 s30, 8, 24
	s_cselect_b32 s36, 16, 48
	;; [unrolled: 1-line block ×6, first 2 shown]
	s_mov_b64 s[4:5], 0
	v_mov_b32_e32 v9, s0
	v_mov_b32_e32 v11, s10
	;; [unrolled: 1-line block ×5, first 2 shown]
	v_cmp_ne_u32_e64 s[0:1], 1, v0
	s_branch .LBB18_12
.LBB18_11:                              ;   in Loop: Header=BB18_12 Depth=1
	s_or_b64 exec, exec, s[10:11]
	ds_bpermute_b32 v0, v35, v42
	s_bcnt1_i32_b64 s2, vcc
	v_add_u32_e32 v31, s2, v31
	s_waitcnt lgkmcnt(0)
	v_min_i32_e32 v0, v0, v42
	ds_bpermute_b32 v1, v36, v0
	s_waitcnt lgkmcnt(0)
	v_min_i32_e32 v0, v1, v0
	ds_bpermute_b32 v1, v37, v0
	;; [unrolled: 3-line block ×4, first 2 shown]
	s_waitcnt lgkmcnt(0)
	v_min_i32_e32 v43, v1, v0
	v_cmp_le_i32_e32 vcc, s14, v43
	s_or_b64 s[4:5], vcc, s[4:5]
	s_andn2_b64 exec, exec, s[4:5]
	s_cbranch_execz .LBB18_40
.LBB18_12:                              ; =>This Loop Header: Depth=1
                                        ;     Child Loop BB18_15 Depth 2
                                        ;     Child Loop BB18_28 Depth 2
	v_cmp_lt_i32_e32 vcc, v4, v29
	v_mov_b32_e32 v42, s14
	ds_write_b8 v40, v8
	ds_write2_b64 v32, v[9:10], v[11:12] offset1:1
	ds_write2_b64 v32, v[9:10], v[11:12] offset0:2 offset1:3
	ds_write2_b64 v32, v[9:10], v[11:12] offset0:4 offset1:5
	;; [unrolled: 1-line block ×3, first 2 shown]
	ds_write_b64 v32, v[13:14] offset:64
	s_waitcnt lgkmcnt(0)
	s_and_saveexec_b64 s[10:11], vcc
	s_cbranch_execz .LBB18_25
; %bb.13:                               ;   in Loop: Header=BB18_12 Depth=1
	v_mad_u64_u32 v[0:1], s[2:3], v4, 9, 8
	s_mov_b64 s[12:13], 0
	v_mov_b32_e32 v42, s14
	s_branch .LBB18_15
.LBB18_14:                              ;   in Loop: Header=BB18_15 Depth=2
	s_or_b64 exec, exec, s[34:35]
	s_and_b64 s[2:3], exec, s[20:21]
	s_or_b64 s[12:13], s[2:3], s[12:13]
	s_andn2_b64 exec, exec, s[12:13]
	s_cbranch_execz .LBB18_24
.LBB18_15:                              ;   Parent Loop BB18_12 Depth=1
                                        ; =>  This Inner Loop Header: Depth=2
	v_ashrrev_i32_e32 v5, 31, v4
	v_lshlrev_b64 v[1:2], 2, v[4:5]
	v_mov_b32_e32 v3, s19
	v_add_co_u32_e32 v1, vcc, s18, v1
	v_addc_co_u32_e32 v2, vcc, v3, v2, vcc
	global_load_dword v1, v[1:2], off
	s_waitcnt vmcnt(0)
	v_subrev_u32_e32 v2, s8, v1
	v_sub_u32_e32 v1, v2, v43
	v_cmp_gt_u32_e64 s[2:3], 32, v1
	v_cmp_lt_u32_e32 vcc, 31, v1
	s_and_saveexec_b64 s[20:21], vcc
	s_xor_b64 s[20:21], exec, s[20:21]
; %bb.16:                               ;   in Loop: Header=BB18_15 Depth=2
	v_min_i32_e32 v42, v2, v42
                                        ; implicit-def: $vgpr1
; %bb.17:                               ;   in Loop: Header=BB18_15 Depth=2
	s_andn2_saveexec_b64 s[20:21], s[20:21]
	s_cbranch_execz .LBB18_22
; %bb.18:                               ;   in Loop: Header=BB18_15 Depth=2
	v_add_u32_e32 v7, -8, v0
	v_lshlrev_b64 v[2:3], 3, v[7:8]
	v_mov_b32_e32 v5, s7
	v_add_co_u32_e32 v2, vcc, s6, v2
	v_addc_co_u32_e32 v3, vcc, v5, v3, vcc
	global_load_dwordx2 v[16:17], v[2:3], off
	v_add_u32_e32 v3, v27, v1
	v_mul_lo_u32 v1, v1, s15
	s_mov_b64 s[34:35], -1
	s_and_b64 vcc, exec, s[0:1]
	v_add_u32_e32 v15, -2, v0
	v_add_u32_e32 v23, -7, v0
	;; [unrolled: 1-line block ×6, first 2 shown]
	v_add_u32_e32 v5, v28, v1
	ds_write_b8 v3, v41
	s_waitcnt vmcnt(0)
	v_mul_f32_e64 v24, v17, -s29
	v_mul_f32_e32 v25, s33, v17
	v_fmac_f32_e32 v24, s33, v16
	v_fmac_f32_e32 v25, s29, v16
	v_add_u32_e32 v17, -3, v0
	ds_write_b64 v5, v[24:25]
	s_cbranch_vccnz .LBB18_20
; %bb.19:                               ;   in Loop: Header=BB18_15 Depth=2
	v_lshlrev_b64 v[24:25], 3, v[7:8]
	v_mov_b32_e32 v1, s7
	v_add_co_u32_e32 v44, vcc, s6, v24
	v_mov_b32_e32 v16, v8
	v_addc_co_u32_e32 v45, vcc, v1, v25, vcc
	v_lshlrev_b64 v[24:25], 3, v[15:16]
	v_mov_b32_e32 v20, v8
	v_add_co_u32_e32 v46, vcc, s6, v24
	v_mov_b32_e32 v24, v8
	v_addc_co_u32_e32 v47, vcc, v1, v25, vcc
	v_lshlrev_b64 v[24:25], 3, v[23:24]
	v_lshlrev_b64 v[48:49], 3, v[19:20]
	v_add_co_u32_e32 v24, vcc, s6, v24
	v_addc_co_u32_e32 v25, vcc, v1, v25, vcc
	v_add_co_u32_e32 v48, vcc, s6, v48
	v_mov_b32_e32 v3, v8
	v_addc_co_u32_e32 v49, vcc, v1, v49, vcc
	global_load_dwordx2 v[50:51], v[44:45], off
	global_load_dwordx2 v[52:53], v[46:47], off
	;; [unrolled: 1-line block ×4, first 2 shown]
	v_lshlrev_b64 v[24:25], 3, v[2:3]
	v_mov_b32_e32 v22, v8
	v_add_co_u32_e32 v24, vcc, s6, v24
	v_lshlrev_b64 v[44:45], 3, v[21:22]
	v_addc_co_u32_e32 v25, vcc, v1, v25, vcc
	v_mov_b32_e32 v18, v8
	v_add_co_u32_e32 v44, vcc, s6, v44
	v_lshlrev_b64 v[46:47], 3, v[17:18]
	v_addc_co_u32_e32 v45, vcc, v1, v45, vcc
	v_add_co_u32_e32 v46, vcc, s6, v46
	v_addc_co_u32_e32 v47, vcc, v1, v47, vcc
	v_mov_b32_e32 v1, v8
	v_lshlrev_b64 v[48:49], 3, v[0:1]
	global_load_dwordx2 v[24:25], v[24:25], off
	v_mov_b32_e32 v1, s7
	global_load_dwordx2 v[44:45], v[44:45], off
	v_add_co_u32_e32 v48, vcc, s6, v48
	v_addc_co_u32_e32 v49, vcc, v1, v49, vcc
	global_load_dwordx2 v[46:47], v[46:47], off
	s_mov_b64 s[34:35], 0
	global_load_dwordx2 v[48:49], v[48:49], off
	s_waitcnt vmcnt(7)
	v_mul_f32_e64 v58, v51, -s29
	v_mul_f32_e32 v59, s33, v51
	v_fmac_f32_e32 v58, s33, v50
	v_fmac_f32_e32 v59, s29, v50
	s_waitcnt vmcnt(6)
	v_mul_f32_e64 v50, v53, -s29
	v_mul_f32_e32 v51, s33, v53
	s_waitcnt vmcnt(5)
	v_mul_f32_e64 v60, v55, -s29
	v_mul_f32_e32 v61, s33, v55
	;; [unrolled: 3-line block ×3, first 2 shown]
	v_fmac_f32_e32 v50, s33, v52
	v_fmac_f32_e32 v51, s29, v52
	;; [unrolled: 1-line block ×6, first 2 shown]
	ds_write2_b64 v5, v[58:59], v[50:51] offset0:1 offset1:2
	ds_write2_b64 v5, v[60:61], v[62:63] offset0:3 offset1:4
	s_waitcnt vmcnt(3)
	v_mul_f32_e64 v64, v25, -s29
	v_mul_f32_e32 v65, s33, v25
	s_waitcnt vmcnt(2)
	v_mul_f32_e64 v25, v45, -s29
	v_mul_f32_e32 v26, s33, v45
	v_fmac_f32_e32 v64, s33, v24
	v_fmac_f32_e32 v65, s29, v24
	;; [unrolled: 1-line block ×4, first 2 shown]
	ds_write2_b64 v5, v[64:65], v[25:26] offset0:5 offset1:6
	s_waitcnt vmcnt(1)
	v_mul_f32_e64 v24, v47, -s29
	v_mul_f32_e32 v25, s33, v47
	s_waitcnt vmcnt(0)
	v_mul_f32_e64 v44, v49, -s29
	v_mul_f32_e32 v45, s33, v49
	v_fmac_f32_e32 v24, s33, v46
	v_fmac_f32_e32 v25, s29, v46
	;; [unrolled: 1-line block ×4, first 2 shown]
	ds_write2_b64 v5, v[24:25], v[44:45] offset0:7 offset1:8
.LBB18_20:                              ;   in Loop: Header=BB18_15 Depth=2
	s_andn2_b64 vcc, exec, s[34:35]
	s_cbranch_vccnz .LBB18_22
; %bb.21:                               ;   in Loop: Header=BB18_15 Depth=2
	v_mov_b32_e32 v24, v8
	v_lshlrev_b64 v[22:23], 3, v[23:24]
	v_mov_b32_e32 v1, s7
	v_add_co_u32_e32 v24, vcc, s6, v22
	v_mov_b32_e32 v22, v8
	v_lshlrev_b64 v[20:21], 3, v[21:22]
	v_addc_co_u32_e32 v25, vcc, v1, v23, vcc
	v_add_co_u32_e32 v22, vcc, s6, v20
	v_addc_co_u32_e32 v23, vcc, v1, v21, vcc
	v_lshlrev_b64 v[20:21], 3, v[7:8]
	v_mov_b32_e32 v3, v8
	v_add_co_u32_e32 v44, vcc, s6, v20
	v_mov_b32_e32 v20, v8
	v_lshlrev_b64 v[18:19], 3, v[19:20]
	v_addc_co_u32_e32 v45, vcc, v1, v21, vcc
	v_add_co_u32_e32 v18, vcc, s6, v18
	v_addc_co_u32_e32 v19, vcc, v1, v19, vcc
	global_load_dwordx2 v[20:21], v[24:25], off
	global_load_dwordx2 v[46:47], v[22:23], off
	;; [unrolled: 1-line block ×4, first 2 shown]
	v_mov_b32_e32 v18, v8
	v_lshlrev_b64 v[16:17], 3, v[17:18]
	v_add_co_u32_e32 v16, vcc, s6, v16
	v_addc_co_u32_e32 v17, vcc, v1, v17, vcc
	global_load_dwordx2 v[17:18], v[16:17], off
	v_mov_b32_e32 v16, v8
	v_lshlrev_b64 v[15:16], 3, v[15:16]
	v_add_co_u32_e32 v15, vcc, s6, v15
	v_addc_co_u32_e32 v16, vcc, v1, v16, vcc
	v_lshlrev_b64 v[1:2], 3, v[2:3]
	v_mov_b32_e32 v3, s7
	v_add_co_u32_e32 v1, vcc, s6, v1
	v_addc_co_u32_e32 v2, vcc, v3, v2, vcc
	global_load_dwordx2 v[15:16], v[15:16], off
	s_waitcnt vmcnt(5)
	v_mul_f32_e64 v24, v21, -s29
	global_load_dwordx2 v[2:3], v[1:2], off
	v_mov_b32_e32 v1, v8
	v_lshlrev_b64 v[22:23], 3, v[0:1]
	v_mov_b32_e32 v1, s7
	v_add_co_u32_e32 v22, vcc, s6, v22
	v_addc_co_u32_e32 v23, vcc, v1, v23, vcc
	global_load_dwordx2 v[22:23], v[22:23], off
	v_mul_f32_e32 v25, s33, v21
	s_waitcnt vmcnt(3)
	v_mul_f32_e64 v56, v18, -s29
	v_mul_f32_e32 v57, s33, v18
	v_mul_f32_e64 v44, v47, -s29
	v_mul_f32_e32 v45, s33, v47
	;; [unrolled: 2-line block ×4, first 2 shown]
	v_fmac_f32_e32 v24, s33, v20
	v_fmac_f32_e32 v25, s29, v20
	;; [unrolled: 1-line block ×6, first 2 shown]
	s_waitcnt vmcnt(2)
	v_mul_f32_e64 v18, v16, -s29
	v_mul_f32_e32 v19, s33, v16
	v_fmac_f32_e32 v18, s33, v15
	v_fmac_f32_e32 v19, s29, v15
	v_fmac_f32_e32 v52, s33, v48
	v_fmac_f32_e32 v53, s29, v48
	v_fmac_f32_e32 v54, s33, v50
	v_fmac_f32_e32 v55, s29, v50
	ds_write2_b64 v5, v[24:25], v[44:45] offset0:1 offset1:2
	ds_write2_b64 v5, v[52:53], v[54:55] offset0:3 offset1:4
	;; [unrolled: 1-line block ×3, first 2 shown]
	s_waitcnt vmcnt(1)
	v_mul_f32_e64 v15, v3, -s29
	v_mul_f32_e32 v16, s33, v3
	v_fmac_f32_e32 v15, s33, v2
	v_fmac_f32_e32 v16, s29, v2
	s_waitcnt vmcnt(0)
	v_mul_f32_e64 v1, v23, -s29
	v_mul_f32_e32 v2, s33, v23
	v_fmac_f32_e32 v1, s33, v22
	v_fmac_f32_e32 v2, s29, v22
	ds_write2_b64 v5, v[15:16], v[1:2] offset0:7 offset1:8
.LBB18_22:                              ;   in Loop: Header=BB18_15 Depth=2
	s_or_b64 exec, exec, s[20:21]
	s_mov_b64 s[20:21], -1
	s_and_saveexec_b64 s[34:35], s[2:3]
	s_cbranch_execz .LBB18_14
; %bb.23:                               ;   in Loop: Header=BB18_15 Depth=2
	v_add_u32_e32 v4, 32, v4
	v_cmp_ge_i32_e32 vcc, v4, v29
	v_add_u32_e32 v0, 0x120, v0
	s_orn2_b64 s[20:21], vcc, exec
	s_branch .LBB18_14
.LBB18_24:                              ;   in Loop: Header=BB18_12 Depth=1
	s_or_b64 exec, exec, s[12:13]
.LBB18_25:                              ;   in Loop: Header=BB18_12 Depth=1
	s_or_b64 exec, exec, s[10:11]
	v_cmp_lt_i32_e32 vcc, v6, v30
	s_waitcnt lgkmcnt(0)
	s_and_saveexec_b64 s[10:11], vcc
	s_cbranch_execz .LBB18_38
; %bb.26:                               ;   in Loop: Header=BB18_12 Depth=1
	v_mad_u64_u32 v[15:16], s[2:3], v6, 9, 8
	s_mov_b64 s[12:13], 0
	s_branch .LBB18_28
.LBB18_27:                              ;   in Loop: Header=BB18_28 Depth=2
	s_or_b64 exec, exec, s[34:35]
	s_and_b64 s[2:3], exec, s[20:21]
	s_or_b64 s[12:13], s[2:3], s[12:13]
	s_andn2_b64 exec, exec, s[12:13]
	s_cbranch_execz .LBB18_37
.LBB18_28:                              ;   Parent Loop BB18_12 Depth=1
                                        ; =>  This Inner Loop Header: Depth=2
	v_ashrrev_i32_e32 v7, 31, v6
	v_lshlrev_b64 v[0:1], 2, v[6:7]
	v_mov_b32_e32 v2, s23
	v_add_co_u32_e32 v0, vcc, s22, v0
	v_addc_co_u32_e32 v1, vcc, v2, v1, vcc
	global_load_dword v0, v[0:1], off
	s_waitcnt vmcnt(0)
	v_subrev_u32_e32 v1, s9, v0
	v_sub_u32_e32 v0, v1, v43
	v_cmp_gt_u32_e64 s[2:3], 32, v0
	v_cmp_lt_u32_e32 vcc, 31, v0
	s_and_saveexec_b64 s[20:21], vcc
	s_xor_b64 s[20:21], exec, s[20:21]
; %bb.29:                               ;   in Loop: Header=BB18_28 Depth=2
	v_min_i32_e32 v42, v1, v42
                                        ; implicit-def: $vgpr0
; %bb.30:                               ;   in Loop: Header=BB18_28 Depth=2
	s_andn2_saveexec_b64 s[20:21], s[20:21]
	s_cbranch_execz .LBB18_35
; %bb.31:                               ;   in Loop: Header=BB18_28 Depth=2
	v_add_u32_e32 v7, -8, v15
	v_lshlrev_b64 v[1:2], 3, v[7:8]
	v_mov_b32_e32 v3, s17
	v_add_co_u32_e32 v1, vcc, s16, v1
	v_addc_co_u32_e32 v2, vcc, v3, v2, vcc
	global_load_dwordx2 v[44:45], v[1:2], off
	v_add_u32_e32 v7, v27, v0
	v_mul_lo_u32 v0, v0, s15
	s_mov_b64 s[34:35], -1
	s_and_b64 vcc, exec, s[0:1]
	v_add_u32_e32 v19, -2, v15
	v_add_u32_e32 v5, v28, v0
	ds_read2_b64 v[0:3], v5 offset1:1
	v_add_u32_e32 v25, -7, v15
	v_add_u32_e32 v21, -4, v15
	;; [unrolled: 1-line block ×4, first 2 shown]
	ds_write_b8 v7, v41
	v_add_u32_e32 v7, -5, v15
	s_waitcnt vmcnt(0) lgkmcnt(1)
	v_fma_f32 v0, s28, v44, v0
	v_fma_f32 v1, s31, v44, v1
	v_fma_f32 v0, -s31, v45, v0
	v_fmac_f32_e32 v1, s28, v45
	ds_write_b64 v5, v[0:1]
	v_add_u32_e32 v0, -3, v15
	s_cbranch_vccnz .LBB18_33
; %bb.32:                               ;   in Loop: Header=BB18_28 Depth=2
	v_lshlrev_b64 v[44:45], 3, v[7:8]
	v_mov_b32_e32 v20, v8
	v_mov_b32_e32 v1, s17
	v_add_co_u32_e32 v44, vcc, s16, v44
	v_lshlrev_b64 v[46:47], 3, v[19:20]
	v_addc_co_u32_e32 v45, vcc, v1, v45, vcc
	v_mov_b32_e32 v26, v8
	v_add_co_u32_e32 v46, vcc, s16, v46
	v_lshlrev_b64 v[48:49], 3, v[25:26]
	v_addc_co_u32_e32 v47, vcc, v1, v47, vcc
	;; [unrolled: 4-line block ×3, first 2 shown]
	v_add_co_u32_e32 v50, vcc, s16, v50
	v_mov_b32_e32 v18, v8
	v_addc_co_u32_e32 v51, vcc, v1, v51, vcc
	global_load_dwordx2 v[56:57], v[44:45], off
	global_load_dwordx2 v[58:59], v[46:47], off
	;; [unrolled: 1-line block ×4, first 2 shown]
	v_lshlrev_b64 v[44:45], 3, v[17:18]
	v_mov_b32_e32 v24, v8
	v_add_co_u32_e32 v44, vcc, s16, v44
	v_addc_co_u32_e32 v45, vcc, v1, v45, vcc
	global_load_dwordx2 v[64:65], v[44:45], off
	v_lshlrev_b64 v[44:45], 3, v[23:24]
	v_mov_b32_e32 v16, v8
	v_add_co_u32_e32 v44, vcc, s16, v44
	v_addc_co_u32_e32 v45, vcc, v1, v45, vcc
	v_mov_b32_e32 v1, v8
	global_load_dwordx2 v[66:67], v[44:45], off
	v_lshlrev_b64 v[44:45], 3, v[0:1]
	v_mov_b32_e32 v1, s17
	v_add_co_u32_e32 v44, vcc, s16, v44
	v_addc_co_u32_e32 v45, vcc, v1, v45, vcc
	global_load_dwordx2 v[68:69], v[44:45], off
	v_lshlrev_b64 v[44:45], 3, v[15:16]
	s_mov_b64 s[34:35], 0
	v_add_co_u32_e32 v44, vcc, s16, v44
	v_addc_co_u32_e32 v45, vcc, v1, v45, vcc
	global_load_dwordx2 v[70:71], v[44:45], off
	ds_read2_b64 v[44:47], v5 offset0:2 offset1:3
	ds_read2_b64 v[48:51], v5 offset0:4 offset1:5
	;; [unrolled: 1-line block ×3, first 2 shown]
	s_waitcnt vmcnt(7)
	v_fma_f32 v1, s28, v56, v2
	v_fma_f32 v73, s31, v56, v3
	v_fma_f32 v72, -s31, v57, v1
	s_waitcnt vmcnt(6) lgkmcnt(2)
	v_fma_f32 v1, s28, v58, v44
	v_fma_f32 v45, s31, v58, v45
	v_fmac_f32_e32 v73, s28, v57
	s_waitcnt vmcnt(5)
	v_fma_f32 v16, s28, v60, v46
	v_fmac_f32_e32 v47, s31, v60
	s_waitcnt vmcnt(4) lgkmcnt(1)
	v_fma_f32 v18, s28, v62, v48
	v_fma_f32 v49, s31, v62, v49
	v_fma_f32 v44, -s31, v59, v1
	v_fmac_f32_e32 v45, s28, v59
	v_fma_f32 v46, -s31, v61, v16
	v_fmac_f32_e32 v47, s28, v61
	v_fma_f32 v48, -s31, v63, v18
	v_fmac_f32_e32 v49, s28, v63
	ds_write2_b64 v5, v[72:73], v[44:45] offset0:1 offset1:2
	ds_write2_b64 v5, v[46:47], v[48:49] offset0:3 offset1:4
	ds_read_b64 v[44:45], v5 offset:64
	s_waitcnt vmcnt(3)
	v_fma_f32 v20, s28, v64, v50
	v_fmac_f32_e32 v51, s31, v64
	s_waitcnt vmcnt(2) lgkmcnt(3)
	v_fma_f32 v1, s28, v66, v52
	v_fma_f32 v47, s31, v66, v53
	v_fma_f32 v50, -s31, v65, v20
	v_fmac_f32_e32 v51, s28, v65
	v_fma_f32 v46, -s31, v67, v1
	v_fmac_f32_e32 v47, s28, v67
	s_waitcnt vmcnt(1)
	v_fma_f32 v1, s28, v68, v54
	v_fmac_f32_e32 v55, s31, v68
	ds_write2_b64 v5, v[50:51], v[46:47] offset0:5 offset1:6
	v_fma_f32 v46, -s31, v69, v1
	v_fmac_f32_e32 v55, s28, v69
	v_mov_b32_e32 v47, v55
	s_waitcnt vmcnt(0) lgkmcnt(1)
	v_fma_f32 v1, s28, v70, v44
	v_fmac_f32_e32 v45, s31, v70
	v_fma_f32 v44, -s31, v71, v1
	v_fmac_f32_e32 v45, s28, v71
	ds_write2_b64 v5, v[46:47], v[44:45] offset0:7 offset1:8
.LBB18_33:                              ;   in Loop: Header=BB18_28 Depth=2
	s_andn2_b64 vcc, exec, s[34:35]
	s_cbranch_vccnz .LBB18_35
; %bb.34:                               ;   in Loop: Header=BB18_28 Depth=2
	v_mov_b32_e32 v26, v8
	v_lshlrev_b64 v[24:25], 3, v[25:26]
	v_mov_b32_e32 v1, s17
	v_add_co_u32_e32 v44, vcc, s16, v24
	v_mov_b32_e32 v24, v8
	v_lshlrev_b64 v[22:23], 3, v[23:24]
	v_addc_co_u32_e32 v45, vcc, v1, v25, vcc
	v_add_co_u32_e32 v24, vcc, s16, v22
	v_addc_co_u32_e32 v25, vcc, v1, v23, vcc
	v_lshlrev_b64 v[22:23], 3, v[7:8]
	v_mov_b32_e32 v7, s17
	v_add_co_u32_e32 v46, vcc, s16, v22
	v_mov_b32_e32 v22, v8
	v_lshlrev_b64 v[20:21], 3, v[21:22]
	v_addc_co_u32_e32 v47, vcc, v1, v23, vcc
	v_add_co_u32_e32 v20, vcc, s16, v20
	v_addc_co_u32_e32 v21, vcc, v1, v21, vcc
	v_mov_b32_e32 v1, v8
	v_lshlrev_b64 v[0:1], 3, v[0:1]
	global_load_dwordx2 v[48:49], v[44:45], off
	global_load_dwordx2 v[50:51], v[24:25], off
	;; [unrolled: 1-line block ×4, first 2 shown]
	v_mov_b32_e32 v20, v8
	v_add_co_u32_e32 v0, vcc, s16, v0
	v_lshlrev_b64 v[18:19], 3, v[19:20]
	v_addc_co_u32_e32 v1, vcc, v7, v1, vcc
	v_add_co_u32_e32 v18, vcc, s16, v18
	v_addc_co_u32_e32 v19, vcc, v7, v19, vcc
	global_load_dwordx2 v[24:25], v[18:19], off
	v_mov_b32_e32 v18, v8
	v_lshlrev_b64 v[16:17], 3, v[17:18]
	global_load_dwordx2 v[0:1], v[0:1], off
	v_add_co_u32_e32 v16, vcc, s16, v16
	v_addc_co_u32_e32 v17, vcc, v7, v17, vcc
	global_load_dwordx2 v[56:57], v[16:17], off
	v_mov_b32_e32 v16, v8
	v_lshlrev_b64 v[16:17], 3, v[15:16]
	v_add_co_u32_e32 v16, vcc, s16, v16
	v_addc_co_u32_e32 v17, vcc, v7, v17, vcc
	global_load_dwordx2 v[58:59], v[16:17], off
	ds_read2_b64 v[16:19], v5 offset0:2 offset1:3
	ds_read2_b64 v[20:23], v5 offset0:4 offset1:5
	;; [unrolled: 1-line block ×3, first 2 shown]
	s_waitcnt vmcnt(7)
	v_fma_f32 v2, s28, v48, v2
	v_fmac_f32_e32 v3, s31, v48
	s_waitcnt vmcnt(6) lgkmcnt(2)
	v_fma_f32 v7, s28, v50, v16
	v_fma_f32 v17, s31, v50, v17
	s_waitcnt vmcnt(5)
	v_fma_f32 v18, s28, v52, v18
	v_fmac_f32_e32 v19, s31, v52
	s_waitcnt vmcnt(4) lgkmcnt(1)
	v_fma_f32 v20, s28, v54, v20
	v_fma_f32 v21, s31, v54, v21
	v_fma_f32 v2, -s31, v49, v2
	v_fmac_f32_e32 v3, s28, v49
	v_fma_f32 v16, -s31, v51, v7
	v_fmac_f32_e32 v17, s28, v51
	;; [unrolled: 2-line block ×4, first 2 shown]
	ds_write2_b64 v5, v[2:3], v[16:17] offset0:1 offset1:2
	ds_write2_b64 v5, v[18:19], v[20:21] offset0:3 offset1:4
	s_waitcnt vmcnt(2)
	v_fma_f32 v22, s28, v0, v22
	v_fmac_f32_e32 v23, s31, v0
	v_fma_f32 v22, -s31, v1, v22
	v_fmac_f32_e32 v23, s28, v1
	ds_read_b64 v[0:1], v5 offset:64
	s_waitcnt lgkmcnt(3)
	v_fma_f32 v2, s28, v24, v44
	v_fma_f32 v3, s31, v24, v45
	v_fma_f32 v2, -s31, v25, v2
	v_fmac_f32_e32 v3, s28, v25
	s_waitcnt vmcnt(1)
	v_fmac_f32_e32 v47, s31, v56
	ds_write2_b64 v5, v[22:23], v[2:3] offset0:5 offset1:6
	v_fma_f32 v2, s28, v56, v46
	v_fmac_f32_e32 v47, s28, v57
	s_waitcnt vmcnt(0) lgkmcnt(1)
	v_fma_f32 v0, s28, v58, v0
	v_fmac_f32_e32 v1, s31, v58
	v_fma_f32 v2, -s31, v57, v2
	v_fma_f32 v0, -s31, v59, v0
	v_fmac_f32_e32 v1, s28, v59
	v_mov_b32_e32 v3, v47
	ds_write2_b64 v5, v[2:3], v[0:1] offset0:7 offset1:8
.LBB18_35:                              ;   in Loop: Header=BB18_28 Depth=2
	s_or_b64 exec, exec, s[20:21]
	s_mov_b64 s[20:21], -1
	s_and_saveexec_b64 s[34:35], s[2:3]
	s_cbranch_execz .LBB18_27
; %bb.36:                               ;   in Loop: Header=BB18_28 Depth=2
	v_add_u32_e32 v6, 32, v6
	v_cmp_ge_i32_e32 vcc, v6, v30
	v_add_u32_e32 v15, 0x120, v15
	s_orn2_b64 s[20:21], vcc, exec
	s_branch .LBB18_27
.LBB18_37:                              ;   in Loop: Header=BB18_12 Depth=1
	s_or_b64 exec, exec, s[12:13]
.LBB18_38:                              ;   in Loop: Header=BB18_12 Depth=1
	s_or_b64 exec, exec, s[10:11]
	s_waitcnt lgkmcnt(0)
	ds_read_u8 v0, v40
	s_waitcnt lgkmcnt(0)
	v_and_b32_e32 v1, 1, v0
	v_cmp_eq_u32_e64 s[2:3], 1, v1
	v_cmp_ne_u16_e32 vcc, 0, v0
	s_and_saveexec_b64 s[10:11], s[2:3]
	s_cbranch_execz .LBB18_11
; %bb.39:                               ;   in Loop: Header=BB18_12 Depth=1
	v_and_b32_e32 v0, vcc_lo, v33
	v_bcnt_u32_b32 v0, v0, 0
	v_add3_u32 v0, v31, v0, -1
	v_ashrrev_i32_e32 v1, 31, v0
	v_lshlrev_b64 v[1:2], 2, v[0:1]
	v_mov_b32_e32 v5, s25
	v_add_co_u32_e64 v1, s[2:3], s24, v1
	v_add_u32_e32 v3, v34, v43
	v_addc_co_u32_e64 v2, s[2:3], v5, v2, s[2:3]
	global_store_dword v[1:2], v3, off
	v_lshl_add_u32 v7, v0, 3, v0
	ds_read2_b64 v[0:3], v32 offset1:4
	v_lshlrev_b64 v[15:16], 3, v[7:8]
	v_mov_b32_e32 v5, s27
	v_add_co_u32_e64 v15, s[2:3], s26, v15
	v_addc_co_u32_e64 v16, s[2:3], v5, v16, s[2:3]
	s_waitcnt lgkmcnt(0)
	global_store_dwordx2 v[15:16], v[0:1], off
	v_add_u32_e32 v0, 1, v7
	v_mov_b32_e32 v1, v8
	v_lshlrev_b64 v[0:1], 3, v[0:1]
	v_add_u32_e32 v15, 2, v7
	v_mov_b32_e32 v16, v8
	v_add_co_u32_e64 v0, s[2:3], s26, v0
	v_lshlrev_b64 v[15:16], 3, v[15:16]
	v_addc_co_u32_e64 v1, s[2:3], v5, v1, s[2:3]
	v_add_u32_e32 v17, 3, v7
	v_mov_b32_e32 v18, v8
	v_add_co_u32_e64 v15, s[2:3], s26, v15
	v_lshlrev_b64 v[17:18], 3, v[17:18]
	v_addc_co_u32_e64 v16, s[2:3], v5, v16, s[2:3]
	;; [unrolled: 5-line block ×6, first 2 shown]
	v_add_u32_e32 v7, 8, v7
	v_add_co_u32_e64 v25, s[2:3], s26, v25
	v_lshlrev_b64 v[43:44], 3, v[7:8]
	v_addc_co_u32_e64 v26, s[2:3], v5, v26, s[2:3]
	v_add_co_u32_e64 v43, s[2:3], s26, v43
	v_addc_co_u32_e64 v44, s[2:3], v5, v44, s[2:3]
	v_add_u32_e32 v5, s30, v32
	v_add_u32_e32 v7, s36, v32
	ds_read_b64 v[45:46], v5
	ds_read_b64 v[47:48], v7
	v_add_u32_e32 v5, s37, v32
	ds_read_b64 v[49:50], v5
	ds_read_b64 v[51:52], v32 offset:64
	s_waitcnt lgkmcnt(3)
	global_store_dwordx2 v[0:1], v[45:46], off
	s_waitcnt lgkmcnt(2)
	global_store_dwordx2 v[15:16], v[47:48], off
	v_add_u32_e32 v0, s38, v32
	v_add_u32_e32 v5, s39, v32
	;; [unrolled: 1-line block ×3, first 2 shown]
	ds_read_b64 v[0:1], v0
	ds_read_b64 v[15:16], v5
	;; [unrolled: 1-line block ×3, first 2 shown]
	s_waitcnt lgkmcnt(4)
	global_store_dwordx2 v[17:18], v[49:50], off
	global_store_dwordx2 v[19:20], v[2:3], off
	s_waitcnt lgkmcnt(2)
	global_store_dwordx2 v[21:22], v[0:1], off
	s_waitcnt lgkmcnt(1)
	;; [unrolled: 2-line block ×3, first 2 shown]
	global_store_dwordx2 v[25:26], v[45:46], off
	global_store_dwordx2 v[43:44], v[51:52], off
	s_branch .LBB18_11
.LBB18_40:
	s_endpgm
.LBB18_41:
	s_load_dword s33, s[28:29], 0x0
	v_cndmask_b32_e64 v1, 0, 1, s[2:3]
	v_cmp_ne_u32_e64 s[0:1], 1, v1
	s_andn2_b64 vcc, exec, s[2:3]
	s_cbranch_vccnz .LBB18_2
.LBB18_42:
	s_load_dword s29, s[28:29], 0x4
	s_and_b64 vcc, exec, s[0:1]
	s_mov_b32 s28, s30
	s_cbranch_vccnz .LBB18_3
.LBB18_43:
	s_load_dword s28, s[30:31], 0x0
	s_and_b64 vcc, exec, s[0:1]
	s_cbranch_vccz .LBB18_4
	s_branch .LBB18_5
	.section	.rodata,"a",@progbits
	.p2align	6, 0x0
	.amdhsa_kernel _ZN9rocsparseL39bsrgeam_wf_per_row_multipass_2_3_kernelILj256ELj3ELj32E21rocsparse_complex_numIfEEEv20rocsparse_direction_iiiNS_24const_host_device_scalarIT2_EEPKiS8_PKS5_S6_S8_S8_SA_S8_PiPS5_21rocsparse_index_base_SD_SD_b
		.amdhsa_group_segment_fixed_size 18688
		.amdhsa_private_segment_fixed_size 0
		.amdhsa_kernarg_size 120
		.amdhsa_user_sgpr_count 6
		.amdhsa_user_sgpr_private_segment_buffer 1
		.amdhsa_user_sgpr_dispatch_ptr 0
		.amdhsa_user_sgpr_queue_ptr 0
		.amdhsa_user_sgpr_kernarg_segment_ptr 1
		.amdhsa_user_sgpr_dispatch_id 0
		.amdhsa_user_sgpr_flat_scratch_init 0
		.amdhsa_user_sgpr_private_segment_size 0
		.amdhsa_uses_dynamic_stack 0
		.amdhsa_system_sgpr_private_segment_wavefront_offset 0
		.amdhsa_system_sgpr_workgroup_id_x 1
		.amdhsa_system_sgpr_workgroup_id_y 0
		.amdhsa_system_sgpr_workgroup_id_z 0
		.amdhsa_system_sgpr_workgroup_info 0
		.amdhsa_system_vgpr_workitem_id 0
		.amdhsa_next_free_vgpr 74
		.amdhsa_next_free_sgpr 98
		.amdhsa_reserve_vcc 1
		.amdhsa_reserve_flat_scratch 0
		.amdhsa_float_round_mode_32 0
		.amdhsa_float_round_mode_16_64 0
		.amdhsa_float_denorm_mode_32 3
		.amdhsa_float_denorm_mode_16_64 3
		.amdhsa_dx10_clamp 1
		.amdhsa_ieee_mode 1
		.amdhsa_fp16_overflow 0
		.amdhsa_exception_fp_ieee_invalid_op 0
		.amdhsa_exception_fp_denorm_src 0
		.amdhsa_exception_fp_ieee_div_zero 0
		.amdhsa_exception_fp_ieee_overflow 0
		.amdhsa_exception_fp_ieee_underflow 0
		.amdhsa_exception_fp_ieee_inexact 0
		.amdhsa_exception_int_div_zero 0
	.end_amdhsa_kernel
	.section	.text._ZN9rocsparseL39bsrgeam_wf_per_row_multipass_2_3_kernelILj256ELj3ELj32E21rocsparse_complex_numIfEEEv20rocsparse_direction_iiiNS_24const_host_device_scalarIT2_EEPKiS8_PKS5_S6_S8_S8_SA_S8_PiPS5_21rocsparse_index_base_SD_SD_b,"axG",@progbits,_ZN9rocsparseL39bsrgeam_wf_per_row_multipass_2_3_kernelILj256ELj3ELj32E21rocsparse_complex_numIfEEEv20rocsparse_direction_iiiNS_24const_host_device_scalarIT2_EEPKiS8_PKS5_S6_S8_S8_SA_S8_PiPS5_21rocsparse_index_base_SD_SD_b,comdat
.Lfunc_end18:
	.size	_ZN9rocsparseL39bsrgeam_wf_per_row_multipass_2_3_kernelILj256ELj3ELj32E21rocsparse_complex_numIfEEEv20rocsparse_direction_iiiNS_24const_host_device_scalarIT2_EEPKiS8_PKS5_S6_S8_S8_SA_S8_PiPS5_21rocsparse_index_base_SD_SD_b, .Lfunc_end18-_ZN9rocsparseL39bsrgeam_wf_per_row_multipass_2_3_kernelILj256ELj3ELj32E21rocsparse_complex_numIfEEEv20rocsparse_direction_iiiNS_24const_host_device_scalarIT2_EEPKiS8_PKS5_S6_S8_S8_SA_S8_PiPS5_21rocsparse_index_base_SD_SD_b
                                        ; -- End function
	.set _ZN9rocsparseL39bsrgeam_wf_per_row_multipass_2_3_kernelILj256ELj3ELj32E21rocsparse_complex_numIfEEEv20rocsparse_direction_iiiNS_24const_host_device_scalarIT2_EEPKiS8_PKS5_S6_S8_S8_SA_S8_PiPS5_21rocsparse_index_base_SD_SD_b.num_vgpr, 74
	.set _ZN9rocsparseL39bsrgeam_wf_per_row_multipass_2_3_kernelILj256ELj3ELj32E21rocsparse_complex_numIfEEEv20rocsparse_direction_iiiNS_24const_host_device_scalarIT2_EEPKiS8_PKS5_S6_S8_S8_SA_S8_PiPS5_21rocsparse_index_base_SD_SD_b.num_agpr, 0
	.set _ZN9rocsparseL39bsrgeam_wf_per_row_multipass_2_3_kernelILj256ELj3ELj32E21rocsparse_complex_numIfEEEv20rocsparse_direction_iiiNS_24const_host_device_scalarIT2_EEPKiS8_PKS5_S6_S8_S8_SA_S8_PiPS5_21rocsparse_index_base_SD_SD_b.numbered_sgpr, 41
	.set _ZN9rocsparseL39bsrgeam_wf_per_row_multipass_2_3_kernelILj256ELj3ELj32E21rocsparse_complex_numIfEEEv20rocsparse_direction_iiiNS_24const_host_device_scalarIT2_EEPKiS8_PKS5_S6_S8_S8_SA_S8_PiPS5_21rocsparse_index_base_SD_SD_b.num_named_barrier, 0
	.set _ZN9rocsparseL39bsrgeam_wf_per_row_multipass_2_3_kernelILj256ELj3ELj32E21rocsparse_complex_numIfEEEv20rocsparse_direction_iiiNS_24const_host_device_scalarIT2_EEPKiS8_PKS5_S6_S8_S8_SA_S8_PiPS5_21rocsparse_index_base_SD_SD_b.private_seg_size, 0
	.set _ZN9rocsparseL39bsrgeam_wf_per_row_multipass_2_3_kernelILj256ELj3ELj32E21rocsparse_complex_numIfEEEv20rocsparse_direction_iiiNS_24const_host_device_scalarIT2_EEPKiS8_PKS5_S6_S8_S8_SA_S8_PiPS5_21rocsparse_index_base_SD_SD_b.uses_vcc, 1
	.set _ZN9rocsparseL39bsrgeam_wf_per_row_multipass_2_3_kernelILj256ELj3ELj32E21rocsparse_complex_numIfEEEv20rocsparse_direction_iiiNS_24const_host_device_scalarIT2_EEPKiS8_PKS5_S6_S8_S8_SA_S8_PiPS5_21rocsparse_index_base_SD_SD_b.uses_flat_scratch, 0
	.set _ZN9rocsparseL39bsrgeam_wf_per_row_multipass_2_3_kernelILj256ELj3ELj32E21rocsparse_complex_numIfEEEv20rocsparse_direction_iiiNS_24const_host_device_scalarIT2_EEPKiS8_PKS5_S6_S8_S8_SA_S8_PiPS5_21rocsparse_index_base_SD_SD_b.has_dyn_sized_stack, 0
	.set _ZN9rocsparseL39bsrgeam_wf_per_row_multipass_2_3_kernelILj256ELj3ELj32E21rocsparse_complex_numIfEEEv20rocsparse_direction_iiiNS_24const_host_device_scalarIT2_EEPKiS8_PKS5_S6_S8_S8_SA_S8_PiPS5_21rocsparse_index_base_SD_SD_b.has_recursion, 0
	.set _ZN9rocsparseL39bsrgeam_wf_per_row_multipass_2_3_kernelILj256ELj3ELj32E21rocsparse_complex_numIfEEEv20rocsparse_direction_iiiNS_24const_host_device_scalarIT2_EEPKiS8_PKS5_S6_S8_S8_SA_S8_PiPS5_21rocsparse_index_base_SD_SD_b.has_indirect_call, 0
	.section	.AMDGPU.csdata,"",@progbits
; Kernel info:
; codeLenInByte = 4116
; TotalNumSgprs: 45
; NumVgprs: 74
; ScratchSize: 0
; MemoryBound: 0
; FloatMode: 240
; IeeeMode: 1
; LDSByteSize: 18688 bytes/workgroup (compile time only)
; SGPRBlocks: 12
; VGPRBlocks: 18
; NumSGPRsForWavesPerEU: 102
; NumVGPRsForWavesPerEU: 74
; Occupancy: 3
; WaveLimiterHint : 1
; COMPUTE_PGM_RSRC2:SCRATCH_EN: 0
; COMPUTE_PGM_RSRC2:USER_SGPR: 6
; COMPUTE_PGM_RSRC2:TRAP_HANDLER: 0
; COMPUTE_PGM_RSRC2:TGID_X_EN: 1
; COMPUTE_PGM_RSRC2:TGID_Y_EN: 0
; COMPUTE_PGM_RSRC2:TGID_Z_EN: 0
; COMPUTE_PGM_RSRC2:TIDIG_COMP_CNT: 0
	.section	.text._ZN9rocsparseL39bsrgeam_wf_per_row_multipass_2_3_kernelILj256ELj3ELj64E21rocsparse_complex_numIfEEEv20rocsparse_direction_iiiNS_24const_host_device_scalarIT2_EEPKiS8_PKS5_S6_S8_S8_SA_S8_PiPS5_21rocsparse_index_base_SD_SD_b,"axG",@progbits,_ZN9rocsparseL39bsrgeam_wf_per_row_multipass_2_3_kernelILj256ELj3ELj64E21rocsparse_complex_numIfEEEv20rocsparse_direction_iiiNS_24const_host_device_scalarIT2_EEPKiS8_PKS5_S6_S8_S8_SA_S8_PiPS5_21rocsparse_index_base_SD_SD_b,comdat
	.globl	_ZN9rocsparseL39bsrgeam_wf_per_row_multipass_2_3_kernelILj256ELj3ELj64E21rocsparse_complex_numIfEEEv20rocsparse_direction_iiiNS_24const_host_device_scalarIT2_EEPKiS8_PKS5_S6_S8_S8_SA_S8_PiPS5_21rocsparse_index_base_SD_SD_b ; -- Begin function _ZN9rocsparseL39bsrgeam_wf_per_row_multipass_2_3_kernelILj256ELj3ELj64E21rocsparse_complex_numIfEEEv20rocsparse_direction_iiiNS_24const_host_device_scalarIT2_EEPKiS8_PKS5_S6_S8_S8_SA_S8_PiPS5_21rocsparse_index_base_SD_SD_b
	.p2align	8
	.type	_ZN9rocsparseL39bsrgeam_wf_per_row_multipass_2_3_kernelILj256ELj3ELj64E21rocsparse_complex_numIfEEEv20rocsparse_direction_iiiNS_24const_host_device_scalarIT2_EEPKiS8_PKS5_S6_S8_S8_SA_S8_PiPS5_21rocsparse_index_base_SD_SD_b,@function
_ZN9rocsparseL39bsrgeam_wf_per_row_multipass_2_3_kernelILj256ELj3ELj64E21rocsparse_complex_numIfEEEv20rocsparse_direction_iiiNS_24const_host_device_scalarIT2_EEPKiS8_PKS5_S6_S8_S8_SA_S8_PiPS5_21rocsparse_index_base_SD_SD_b: ; @_ZN9rocsparseL39bsrgeam_wf_per_row_multipass_2_3_kernelILj256ELj3ELj64E21rocsparse_complex_numIfEEEv20rocsparse_direction_iiiNS_24const_host_device_scalarIT2_EEPKiS8_PKS5_S6_S8_S8_SA_S8_PiPS5_21rocsparse_index_base_SD_SD_b
; %bb.0:
	s_load_dwordx4 s[8:11], s[4:5], 0x68
	s_load_dwordx2 s[28:29], s[4:5], 0x10
	s_load_dwordx2 s[30:31], s[4:5], 0x30
	s_waitcnt lgkmcnt(0)
	s_bitcmp1_b32 s11, 0
	s_cselect_b64 s[0:1], -1, 0
	s_xor_b64 s[2:3], s[0:1], -1
	s_and_b64 vcc, exec, s[0:1]
	s_mov_b32 s33, s28
	s_cbranch_vccz .LBB19_41
; %bb.1:
	v_cndmask_b32_e64 v1, 0, 1, s[2:3]
	v_cmp_ne_u32_e64 s[0:1], 1, v1
	s_andn2_b64 vcc, exec, s[2:3]
	s_cbranch_vccz .LBB19_42
.LBB19_2:
	s_and_b64 vcc, exec, s[0:1]
	s_mov_b32 s28, s30
	s_cbranch_vccz .LBB19_43
.LBB19_3:
	s_and_b64 vcc, exec, s[0:1]
	s_cbranch_vccnz .LBB19_5
.LBB19_4:
	s_load_dword s31, s[30:31], 0x4
.LBB19_5:
	s_nop 0
	s_load_dwordx4 s[12:15], s[4:5], 0x0
	s_lshl_b32 s0, s6, 2
	v_lshrrev_b32_e32 v8, 6, v0
	s_and_b32 s0, s0, 0x3fffffc
	v_or_b32_e32 v1, s0, v8
	s_waitcnt lgkmcnt(0)
	v_cmp_gt_i32_e32 vcc, s13, v1
	s_and_saveexec_b64 s[0:1], vcc
	s_cbranch_execz .LBB19_40
; %bb.6:
	s_load_dwordx4 s[16:19], s[4:5], 0x18
	s_load_dwordx4 s[20:23], s[4:5], 0x38
	s_load_dwordx2 s[0:1], s[4:5], 0x50
	v_lshlrev_b32_e32 v5, 2, v1
	s_waitcnt lgkmcnt(0)
	global_load_dwordx2 v[1:2], v5, s[16:17]
	global_load_dwordx2 v[3:4], v5, s[20:21]
	global_load_dword v9, v5, s[0:1]
	s_waitcnt vmcnt(2)
	v_subrev_u32_e32 v5, s8, v1
	v_cmp_lt_i32_e32 vcc, v1, v2
	v_mov_b32_e32 v1, s14
	s_and_saveexec_b64 s[0:1], vcc
	s_cbranch_execz .LBB19_8
; %bb.7:
	v_ashrrev_i32_e32 v6, 31, v5
	v_lshlrev_b64 v[6:7], 2, v[5:6]
	v_mov_b32_e32 v1, s19
	v_add_co_u32_e32 v6, vcc, s18, v6
	v_addc_co_u32_e32 v7, vcc, v1, v7, vcc
	global_load_dword v1, v[6:7], off
	s_waitcnt vmcnt(0)
	v_subrev_u32_e32 v1, s8, v1
.LBB19_8:
	s_or_b64 exec, exec, s[0:1]
	s_load_dwordx4 s[24:27], s[4:5], 0x58
	s_load_dwordx2 s[6:7], s[4:5], 0x28
	s_load_dwordx2 s[16:17], s[4:5], 0x48
	s_waitcnt vmcnt(1)
	v_subrev_u32_e32 v6, s9, v3
	v_cmp_lt_i32_e32 vcc, v3, v4
	v_mov_b32_e32 v3, s14
	s_and_saveexec_b64 s[0:1], vcc
	s_cbranch_execz .LBB19_10
; %bb.9:
	v_ashrrev_i32_e32 v7, 31, v6
	v_lshlrev_b64 v[10:11], 2, v[6:7]
	v_mov_b32_e32 v3, s23
	v_add_co_u32_e32 v10, vcc, s22, v10
	v_addc_co_u32_e32 v11, vcc, v3, v11, vcc
	global_load_dword v3, v[10:11], off
	s_waitcnt vmcnt(0)
	v_subrev_u32_e32 v3, s9, v3
.LBB19_10:
	s_or_b64 exec, exec, s[0:1]
	v_and_b32_e32 v7, 0xc0, v0
	v_and_b32_e32 v0, 63, v0
	s_movk_i32 s0, 0x1200
	v_min_i32_e32 v45, v3, v1
	v_mul_u32_u24_e32 v1, 0x48, v0
	v_mad_u32_u24 v34, v8, s0, v1
	v_mbcnt_lo_u32_b32 v1, -1, 0
	v_mbcnt_hi_u32_b32 v1, -1, v1
	v_subrev_u32_e32 v31, s8, v2
	v_and_b32_e32 v2, 64, v1
	v_xor_b32_e32 v3, 63, v0
	s_waitcnt vmcnt(0)
	v_subrev_u32_e32 v33, s10, v9
	v_add_u32_e32 v2, 64, v2
	v_lshrrev_b64 v[9:10], v3, -1
	v_xor_b32_e32 v3, 32, v1
	v_cmp_lt_i32_e32 vcc, v3, v2
	v_cndmask_b32_e32 v3, v1, v3, vcc
	v_lshlrev_b32_e32 v36, 2, v3
	v_xor_b32_e32 v3, 16, v1
	v_cmp_lt_i32_e32 vcc, v3, v2
	v_cndmask_b32_e32 v3, v1, v3, vcc
	v_lshlrev_b32_e32 v37, 2, v3
	;; [unrolled: 4-line block ×4, first 2 shown]
	v_xor_b32_e32 v3, 2, v1
	v_cmp_lt_i32_e32 vcc, v3, v2
	v_cndmask_b32_e32 v3, v1, v3, vcc
	s_mov_b32 s0, 0
	s_cmp_lg_u32 s12, 0
	v_lshlrev_b32_e32 v40, 2, v3
	v_xor_b32_e32 v3, 1, v1
	v_or_b32_e32 v29, 0x4800, v7
	s_cselect_b64 s[2:3], -1, 0
	v_cmp_lt_i32_e32 vcc, v3, v2
	s_mov_b32 s1, s0
	s_mov_b32 s11, s0
	v_mul_u32_u24_e32 v30, 0x1200, v8
	v_subrev_u32_e32 v32, s9, v4
	v_add_u32_e32 v4, v5, v0
	v_add_u32_e32 v6, v6, v0
	v_mov_b32_e32 v8, 0
	s_cmp_eq_u32 s12, 0
	v_add_u32_e32 v35, s10, v0
	v_cndmask_b32_e32 v1, v1, v3, vcc
	v_add_u32_e32 v42, v29, v0
	s_mov_b32 s10, s0
	v_mov_b32_e32 v12, s1
	v_mov_b32_e32 v14, s11
	v_cndmask_b32_e64 v0, 0, 1, s[2:3]
	s_movk_i32 s15, 0x48
	v_lshlrev_b32_e32 v41, 2, v1
	s_cselect_b32 s30, 8, 24
	s_cselect_b32 s36, 16, 48
	;; [unrolled: 1-line block ×6, first 2 shown]
	s_mov_b64 s[4:5], 0
	v_mov_b32_e32 v11, s0
	v_mov_b32_e32 v13, s10
	;; [unrolled: 1-line block ×5, first 2 shown]
	v_cmp_ne_u32_e64 s[0:1], 1, v0
	s_branch .LBB19_12
.LBB19_11:                              ;   in Loop: Header=BB19_12 Depth=1
	s_or_b64 exec, exec, s[10:11]
	ds_bpermute_b32 v0, v36, v44
	s_bcnt1_i32_b64 s2, vcc
	v_add_u32_e32 v33, s2, v33
	s_waitcnt lgkmcnt(0)
	v_min_i32_e32 v0, v0, v44
	ds_bpermute_b32 v1, v37, v0
	s_waitcnt lgkmcnt(0)
	v_min_i32_e32 v0, v1, v0
	ds_bpermute_b32 v1, v38, v0
	;; [unrolled: 3-line block ×5, first 2 shown]
	s_waitcnt lgkmcnt(0)
	v_min_i32_e32 v45, v1, v0
	v_cmp_le_i32_e32 vcc, s14, v45
	s_or_b64 s[4:5], vcc, s[4:5]
	s_andn2_b64 exec, exec, s[4:5]
	s_cbranch_execz .LBB19_40
.LBB19_12:                              ; =>This Loop Header: Depth=1
                                        ;     Child Loop BB19_15 Depth 2
                                        ;     Child Loop BB19_28 Depth 2
	v_cmp_lt_i32_e32 vcc, v4, v31
	v_mov_b32_e32 v44, s14
	ds_write_b8 v42, v8
	ds_write2_b64 v34, v[11:12], v[13:14] offset1:1
	ds_write2_b64 v34, v[11:12], v[13:14] offset0:2 offset1:3
	ds_write2_b64 v34, v[11:12], v[13:14] offset0:4 offset1:5
	;; [unrolled: 1-line block ×3, first 2 shown]
	ds_write_b64 v34, v[15:16] offset:64
	s_waitcnt lgkmcnt(0)
	s_and_saveexec_b64 s[10:11], vcc
	s_cbranch_execz .LBB19_25
; %bb.13:                               ;   in Loop: Header=BB19_12 Depth=1
	v_mad_u64_u32 v[0:1], s[2:3], v4, 9, 8
	s_mov_b64 s[12:13], 0
	v_mov_b32_e32 v44, s14
	s_branch .LBB19_15
.LBB19_14:                              ;   in Loop: Header=BB19_15 Depth=2
	s_or_b64 exec, exec, s[34:35]
	s_and_b64 s[2:3], exec, s[20:21]
	s_or_b64 s[12:13], s[2:3], s[12:13]
	s_andn2_b64 exec, exec, s[12:13]
	s_cbranch_execz .LBB19_24
.LBB19_15:                              ;   Parent Loop BB19_12 Depth=1
                                        ; =>  This Inner Loop Header: Depth=2
	v_ashrrev_i32_e32 v5, 31, v4
	v_lshlrev_b64 v[1:2], 2, v[4:5]
	v_mov_b32_e32 v3, s19
	v_add_co_u32_e32 v1, vcc, s18, v1
	v_addc_co_u32_e32 v2, vcc, v3, v2, vcc
	global_load_dword v1, v[1:2], off
	s_waitcnt vmcnt(0)
	v_subrev_u32_e32 v2, s8, v1
	v_sub_u32_e32 v1, v2, v45
	v_cmp_gt_u32_e64 s[2:3], 64, v1
	v_cmp_lt_u32_e32 vcc, 63, v1
	s_and_saveexec_b64 s[20:21], vcc
	s_xor_b64 s[20:21], exec, s[20:21]
; %bb.16:                               ;   in Loop: Header=BB19_15 Depth=2
	v_min_i32_e32 v44, v2, v44
                                        ; implicit-def: $vgpr1
; %bb.17:                               ;   in Loop: Header=BB19_15 Depth=2
	s_andn2_saveexec_b64 s[20:21], s[20:21]
	s_cbranch_execz .LBB19_22
; %bb.18:                               ;   in Loop: Header=BB19_15 Depth=2
	v_add_u32_e32 v7, -8, v0
	v_lshlrev_b64 v[2:3], 3, v[7:8]
	v_mov_b32_e32 v5, s7
	v_add_co_u32_e32 v2, vcc, s6, v2
	v_addc_co_u32_e32 v3, vcc, v5, v3, vcc
	global_load_dwordx2 v[18:19], v[2:3], off
	v_add_u32_e32 v3, v29, v1
	v_mul_lo_u32 v1, v1, s15
	s_mov_b64 s[34:35], -1
	s_and_b64 vcc, exec, s[0:1]
	v_add_u32_e32 v17, -2, v0
	v_add_u32_e32 v25, -7, v0
	;; [unrolled: 1-line block ×6, first 2 shown]
	v_add_u32_e32 v5, v30, v1
	ds_write_b8 v3, v43
	s_waitcnt vmcnt(0)
	v_mul_f32_e64 v26, v19, -s29
	v_mul_f32_e32 v27, s33, v19
	v_fmac_f32_e32 v26, s33, v18
	v_fmac_f32_e32 v27, s29, v18
	v_add_u32_e32 v19, -3, v0
	ds_write_b64 v5, v[26:27]
	s_cbranch_vccnz .LBB19_20
; %bb.19:                               ;   in Loop: Header=BB19_15 Depth=2
	v_lshlrev_b64 v[26:27], 3, v[7:8]
	v_mov_b32_e32 v1, s7
	v_add_co_u32_e32 v46, vcc, s6, v26
	v_mov_b32_e32 v18, v8
	v_addc_co_u32_e32 v47, vcc, v1, v27, vcc
	v_lshlrev_b64 v[26:27], 3, v[17:18]
	v_mov_b32_e32 v22, v8
	v_add_co_u32_e32 v48, vcc, s6, v26
	v_mov_b32_e32 v26, v8
	v_addc_co_u32_e32 v49, vcc, v1, v27, vcc
	v_lshlrev_b64 v[26:27], 3, v[25:26]
	v_lshlrev_b64 v[50:51], 3, v[21:22]
	v_add_co_u32_e32 v26, vcc, s6, v26
	v_addc_co_u32_e32 v27, vcc, v1, v27, vcc
	v_add_co_u32_e32 v50, vcc, s6, v50
	v_mov_b32_e32 v3, v8
	v_addc_co_u32_e32 v51, vcc, v1, v51, vcc
	global_load_dwordx2 v[52:53], v[46:47], off
	global_load_dwordx2 v[54:55], v[48:49], off
	;; [unrolled: 1-line block ×4, first 2 shown]
	v_lshlrev_b64 v[26:27], 3, v[2:3]
	v_mov_b32_e32 v24, v8
	v_add_co_u32_e32 v26, vcc, s6, v26
	v_lshlrev_b64 v[46:47], 3, v[23:24]
	v_addc_co_u32_e32 v27, vcc, v1, v27, vcc
	v_mov_b32_e32 v20, v8
	v_add_co_u32_e32 v46, vcc, s6, v46
	v_lshlrev_b64 v[48:49], 3, v[19:20]
	v_addc_co_u32_e32 v47, vcc, v1, v47, vcc
	v_add_co_u32_e32 v48, vcc, s6, v48
	v_addc_co_u32_e32 v49, vcc, v1, v49, vcc
	v_mov_b32_e32 v1, v8
	v_lshlrev_b64 v[50:51], 3, v[0:1]
	global_load_dwordx2 v[26:27], v[26:27], off
	v_mov_b32_e32 v1, s7
	global_load_dwordx2 v[46:47], v[46:47], off
	v_add_co_u32_e32 v50, vcc, s6, v50
	v_addc_co_u32_e32 v51, vcc, v1, v51, vcc
	global_load_dwordx2 v[48:49], v[48:49], off
	s_mov_b64 s[34:35], 0
	global_load_dwordx2 v[50:51], v[50:51], off
	s_waitcnt vmcnt(7)
	v_mul_f32_e64 v60, v53, -s29
	v_mul_f32_e32 v61, s33, v53
	v_fmac_f32_e32 v60, s33, v52
	v_fmac_f32_e32 v61, s29, v52
	s_waitcnt vmcnt(6)
	v_mul_f32_e64 v52, v55, -s29
	v_mul_f32_e32 v53, s33, v55
	s_waitcnt vmcnt(5)
	v_mul_f32_e64 v62, v57, -s29
	v_mul_f32_e32 v63, s33, v57
	;; [unrolled: 3-line block ×3, first 2 shown]
	v_fmac_f32_e32 v52, s33, v54
	v_fmac_f32_e32 v53, s29, v54
	;; [unrolled: 1-line block ×6, first 2 shown]
	ds_write2_b64 v5, v[60:61], v[52:53] offset0:1 offset1:2
	ds_write2_b64 v5, v[62:63], v[64:65] offset0:3 offset1:4
	s_waitcnt vmcnt(3)
	v_mul_f32_e64 v66, v27, -s29
	v_mul_f32_e32 v67, s33, v27
	s_waitcnt vmcnt(2)
	v_mul_f32_e64 v27, v47, -s29
	v_mul_f32_e32 v28, s33, v47
	v_fmac_f32_e32 v66, s33, v26
	v_fmac_f32_e32 v67, s29, v26
	;; [unrolled: 1-line block ×4, first 2 shown]
	ds_write2_b64 v5, v[66:67], v[27:28] offset0:5 offset1:6
	s_waitcnt vmcnt(1)
	v_mul_f32_e64 v26, v49, -s29
	v_mul_f32_e32 v27, s33, v49
	s_waitcnt vmcnt(0)
	v_mul_f32_e64 v46, v51, -s29
	v_mul_f32_e32 v47, s33, v51
	v_fmac_f32_e32 v26, s33, v48
	v_fmac_f32_e32 v27, s29, v48
	;; [unrolled: 1-line block ×4, first 2 shown]
	ds_write2_b64 v5, v[26:27], v[46:47] offset0:7 offset1:8
.LBB19_20:                              ;   in Loop: Header=BB19_15 Depth=2
	s_andn2_b64 vcc, exec, s[34:35]
	s_cbranch_vccnz .LBB19_22
; %bb.21:                               ;   in Loop: Header=BB19_15 Depth=2
	v_mov_b32_e32 v26, v8
	v_lshlrev_b64 v[24:25], 3, v[25:26]
	v_mov_b32_e32 v1, s7
	v_add_co_u32_e32 v26, vcc, s6, v24
	v_mov_b32_e32 v24, v8
	v_lshlrev_b64 v[22:23], 3, v[23:24]
	v_addc_co_u32_e32 v27, vcc, v1, v25, vcc
	v_add_co_u32_e32 v24, vcc, s6, v22
	v_addc_co_u32_e32 v25, vcc, v1, v23, vcc
	v_lshlrev_b64 v[22:23], 3, v[7:8]
	v_mov_b32_e32 v3, v8
	v_add_co_u32_e32 v46, vcc, s6, v22
	v_mov_b32_e32 v22, v8
	v_lshlrev_b64 v[20:21], 3, v[21:22]
	v_addc_co_u32_e32 v47, vcc, v1, v23, vcc
	v_add_co_u32_e32 v20, vcc, s6, v20
	v_addc_co_u32_e32 v21, vcc, v1, v21, vcc
	global_load_dwordx2 v[22:23], v[26:27], off
	global_load_dwordx2 v[48:49], v[24:25], off
	;; [unrolled: 1-line block ×4, first 2 shown]
	v_mov_b32_e32 v20, v8
	v_lshlrev_b64 v[18:19], 3, v[19:20]
	v_add_co_u32_e32 v18, vcc, s6, v18
	v_addc_co_u32_e32 v19, vcc, v1, v19, vcc
	global_load_dwordx2 v[19:20], v[18:19], off
	v_mov_b32_e32 v18, v8
	v_lshlrev_b64 v[17:18], 3, v[17:18]
	v_add_co_u32_e32 v17, vcc, s6, v17
	v_addc_co_u32_e32 v18, vcc, v1, v18, vcc
	v_lshlrev_b64 v[1:2], 3, v[2:3]
	v_mov_b32_e32 v3, s7
	v_add_co_u32_e32 v1, vcc, s6, v1
	v_addc_co_u32_e32 v2, vcc, v3, v2, vcc
	global_load_dwordx2 v[17:18], v[17:18], off
	s_waitcnt vmcnt(5)
	v_mul_f32_e64 v26, v23, -s29
	global_load_dwordx2 v[2:3], v[1:2], off
	v_mov_b32_e32 v1, v8
	v_lshlrev_b64 v[24:25], 3, v[0:1]
	v_mov_b32_e32 v1, s7
	v_add_co_u32_e32 v24, vcc, s6, v24
	v_addc_co_u32_e32 v25, vcc, v1, v25, vcc
	global_load_dwordx2 v[24:25], v[24:25], off
	v_mul_f32_e32 v27, s33, v23
	s_waitcnt vmcnt(3)
	v_mul_f32_e64 v58, v20, -s29
	v_mul_f32_e32 v59, s33, v20
	v_mul_f32_e64 v46, v49, -s29
	v_mul_f32_e32 v47, s33, v49
	;; [unrolled: 2-line block ×4, first 2 shown]
	v_fmac_f32_e32 v26, s33, v22
	v_fmac_f32_e32 v27, s29, v22
	;; [unrolled: 1-line block ×6, first 2 shown]
	s_waitcnt vmcnt(2)
	v_mul_f32_e64 v20, v18, -s29
	v_mul_f32_e32 v21, s33, v18
	v_fmac_f32_e32 v20, s33, v17
	v_fmac_f32_e32 v21, s29, v17
	;; [unrolled: 1-line block ×6, first 2 shown]
	ds_write2_b64 v5, v[26:27], v[46:47] offset0:1 offset1:2
	ds_write2_b64 v5, v[54:55], v[56:57] offset0:3 offset1:4
	ds_write2_b64 v5, v[58:59], v[20:21] offset0:5 offset1:6
	s_waitcnt vmcnt(1)
	v_mul_f32_e64 v17, v3, -s29
	v_mul_f32_e32 v18, s33, v3
	v_fmac_f32_e32 v17, s33, v2
	v_fmac_f32_e32 v18, s29, v2
	s_waitcnt vmcnt(0)
	v_mul_f32_e64 v1, v25, -s29
	v_mul_f32_e32 v2, s33, v25
	v_fmac_f32_e32 v1, s33, v24
	v_fmac_f32_e32 v2, s29, v24
	ds_write2_b64 v5, v[17:18], v[1:2] offset0:7 offset1:8
.LBB19_22:                              ;   in Loop: Header=BB19_15 Depth=2
	s_or_b64 exec, exec, s[20:21]
	s_mov_b64 s[20:21], -1
	s_and_saveexec_b64 s[34:35], s[2:3]
	s_cbranch_execz .LBB19_14
; %bb.23:                               ;   in Loop: Header=BB19_15 Depth=2
	v_add_u32_e32 v4, 64, v4
	v_cmp_ge_i32_e32 vcc, v4, v31
	v_add_u32_e32 v0, 0x240, v0
	s_orn2_b64 s[20:21], vcc, exec
	s_branch .LBB19_14
.LBB19_24:                              ;   in Loop: Header=BB19_12 Depth=1
	s_or_b64 exec, exec, s[12:13]
.LBB19_25:                              ;   in Loop: Header=BB19_12 Depth=1
	s_or_b64 exec, exec, s[10:11]
	v_cmp_lt_i32_e32 vcc, v6, v32
	s_waitcnt lgkmcnt(0)
	s_and_saveexec_b64 s[10:11], vcc
	s_cbranch_execz .LBB19_38
; %bb.26:                               ;   in Loop: Header=BB19_12 Depth=1
	v_mad_u64_u32 v[17:18], s[2:3], v6, 9, 8
	s_mov_b64 s[12:13], 0
	s_branch .LBB19_28
.LBB19_27:                              ;   in Loop: Header=BB19_28 Depth=2
	s_or_b64 exec, exec, s[34:35]
	s_and_b64 s[2:3], exec, s[20:21]
	s_or_b64 s[12:13], s[2:3], s[12:13]
	s_andn2_b64 exec, exec, s[12:13]
	s_cbranch_execz .LBB19_37
.LBB19_28:                              ;   Parent Loop BB19_12 Depth=1
                                        ; =>  This Inner Loop Header: Depth=2
	v_ashrrev_i32_e32 v7, 31, v6
	v_lshlrev_b64 v[0:1], 2, v[6:7]
	v_mov_b32_e32 v2, s23
	v_add_co_u32_e32 v0, vcc, s22, v0
	v_addc_co_u32_e32 v1, vcc, v2, v1, vcc
	global_load_dword v0, v[0:1], off
	s_waitcnt vmcnt(0)
	v_subrev_u32_e32 v1, s9, v0
	v_sub_u32_e32 v0, v1, v45
	v_cmp_gt_u32_e64 s[2:3], 64, v0
	v_cmp_lt_u32_e32 vcc, 63, v0
	s_and_saveexec_b64 s[20:21], vcc
	s_xor_b64 s[20:21], exec, s[20:21]
; %bb.29:                               ;   in Loop: Header=BB19_28 Depth=2
	v_min_i32_e32 v44, v1, v44
                                        ; implicit-def: $vgpr0
; %bb.30:                               ;   in Loop: Header=BB19_28 Depth=2
	s_andn2_saveexec_b64 s[20:21], s[20:21]
	s_cbranch_execz .LBB19_35
; %bb.31:                               ;   in Loop: Header=BB19_28 Depth=2
	v_add_u32_e32 v7, -8, v17
	v_lshlrev_b64 v[1:2], 3, v[7:8]
	v_mov_b32_e32 v3, s17
	v_add_co_u32_e32 v1, vcc, s16, v1
	v_addc_co_u32_e32 v2, vcc, v3, v2, vcc
	global_load_dwordx2 v[46:47], v[1:2], off
	v_add_u32_e32 v7, v29, v0
	v_mul_lo_u32 v0, v0, s15
	s_mov_b64 s[34:35], -1
	s_and_b64 vcc, exec, s[0:1]
	v_add_u32_e32 v21, -2, v17
	v_add_u32_e32 v5, v30, v0
	ds_read2_b64 v[0:3], v5 offset1:1
	v_add_u32_e32 v27, -7, v17
	v_add_u32_e32 v23, -4, v17
	v_add_u32_e32 v19, -1, v17
	v_add_u32_e32 v25, -6, v17
	ds_write_b8 v7, v43
	v_add_u32_e32 v7, -5, v17
	s_waitcnt vmcnt(0) lgkmcnt(1)
	v_fma_f32 v0, s28, v46, v0
	v_fma_f32 v1, s31, v46, v1
	v_fma_f32 v0, -s31, v47, v0
	v_fmac_f32_e32 v1, s28, v47
	ds_write_b64 v5, v[0:1]
	v_add_u32_e32 v0, -3, v17
	s_cbranch_vccnz .LBB19_33
; %bb.32:                               ;   in Loop: Header=BB19_28 Depth=2
	v_lshlrev_b64 v[46:47], 3, v[7:8]
	v_mov_b32_e32 v22, v8
	v_mov_b32_e32 v1, s17
	v_add_co_u32_e32 v46, vcc, s16, v46
	v_lshlrev_b64 v[48:49], 3, v[21:22]
	v_addc_co_u32_e32 v47, vcc, v1, v47, vcc
	v_mov_b32_e32 v28, v8
	v_add_co_u32_e32 v48, vcc, s16, v48
	v_lshlrev_b64 v[50:51], 3, v[27:28]
	v_addc_co_u32_e32 v49, vcc, v1, v49, vcc
	;; [unrolled: 4-line block ×3, first 2 shown]
	v_add_co_u32_e32 v52, vcc, s16, v52
	v_mov_b32_e32 v20, v8
	v_addc_co_u32_e32 v53, vcc, v1, v53, vcc
	global_load_dwordx2 v[58:59], v[46:47], off
	global_load_dwordx2 v[60:61], v[48:49], off
	;; [unrolled: 1-line block ×4, first 2 shown]
	v_lshlrev_b64 v[46:47], 3, v[19:20]
	v_mov_b32_e32 v26, v8
	v_add_co_u32_e32 v46, vcc, s16, v46
	v_addc_co_u32_e32 v47, vcc, v1, v47, vcc
	global_load_dwordx2 v[66:67], v[46:47], off
	v_lshlrev_b64 v[46:47], 3, v[25:26]
	v_mov_b32_e32 v18, v8
	v_add_co_u32_e32 v46, vcc, s16, v46
	v_addc_co_u32_e32 v47, vcc, v1, v47, vcc
	v_mov_b32_e32 v1, v8
	global_load_dwordx2 v[68:69], v[46:47], off
	v_lshlrev_b64 v[46:47], 3, v[0:1]
	v_mov_b32_e32 v1, s17
	v_add_co_u32_e32 v46, vcc, s16, v46
	v_addc_co_u32_e32 v47, vcc, v1, v47, vcc
	global_load_dwordx2 v[70:71], v[46:47], off
	v_lshlrev_b64 v[46:47], 3, v[17:18]
	s_mov_b64 s[34:35], 0
	v_add_co_u32_e32 v46, vcc, s16, v46
	v_addc_co_u32_e32 v47, vcc, v1, v47, vcc
	global_load_dwordx2 v[72:73], v[46:47], off
	ds_read2_b64 v[46:49], v5 offset0:2 offset1:3
	ds_read2_b64 v[50:53], v5 offset0:4 offset1:5
	;; [unrolled: 1-line block ×3, first 2 shown]
	s_waitcnt vmcnt(7)
	v_fma_f32 v1, s28, v58, v2
	v_fma_f32 v75, s31, v58, v3
	v_fma_f32 v74, -s31, v59, v1
	s_waitcnt vmcnt(6) lgkmcnt(2)
	v_fma_f32 v1, s28, v60, v46
	v_fma_f32 v47, s31, v60, v47
	v_fmac_f32_e32 v75, s28, v59
	s_waitcnt vmcnt(5)
	v_fma_f32 v18, s28, v62, v48
	v_fmac_f32_e32 v49, s31, v62
	s_waitcnt vmcnt(4) lgkmcnt(1)
	v_fma_f32 v20, s28, v64, v50
	v_fma_f32 v51, s31, v64, v51
	v_fma_f32 v46, -s31, v61, v1
	v_fmac_f32_e32 v47, s28, v61
	v_fma_f32 v48, -s31, v63, v18
	v_fmac_f32_e32 v49, s28, v63
	v_fma_f32 v50, -s31, v65, v20
	v_fmac_f32_e32 v51, s28, v65
	ds_write2_b64 v5, v[74:75], v[46:47] offset0:1 offset1:2
	ds_write2_b64 v5, v[48:49], v[50:51] offset0:3 offset1:4
	ds_read_b64 v[46:47], v5 offset:64
	s_waitcnt vmcnt(3)
	v_fma_f32 v22, s28, v66, v52
	v_fmac_f32_e32 v53, s31, v66
	s_waitcnt vmcnt(2) lgkmcnt(3)
	v_fma_f32 v1, s28, v68, v54
	v_fma_f32 v49, s31, v68, v55
	v_fma_f32 v52, -s31, v67, v22
	v_fmac_f32_e32 v53, s28, v67
	v_fma_f32 v48, -s31, v69, v1
	v_fmac_f32_e32 v49, s28, v69
	s_waitcnt vmcnt(1)
	v_fma_f32 v1, s28, v70, v56
	v_fmac_f32_e32 v57, s31, v70
	ds_write2_b64 v5, v[52:53], v[48:49] offset0:5 offset1:6
	v_fma_f32 v48, -s31, v71, v1
	v_fmac_f32_e32 v57, s28, v71
	v_mov_b32_e32 v49, v57
	s_waitcnt vmcnt(0) lgkmcnt(1)
	v_fma_f32 v1, s28, v72, v46
	v_fmac_f32_e32 v47, s31, v72
	v_fma_f32 v46, -s31, v73, v1
	v_fmac_f32_e32 v47, s28, v73
	ds_write2_b64 v5, v[48:49], v[46:47] offset0:7 offset1:8
.LBB19_33:                              ;   in Loop: Header=BB19_28 Depth=2
	s_andn2_b64 vcc, exec, s[34:35]
	s_cbranch_vccnz .LBB19_35
; %bb.34:                               ;   in Loop: Header=BB19_28 Depth=2
	v_mov_b32_e32 v28, v8
	v_lshlrev_b64 v[26:27], 3, v[27:28]
	v_mov_b32_e32 v1, s17
	v_add_co_u32_e32 v46, vcc, s16, v26
	v_mov_b32_e32 v26, v8
	v_lshlrev_b64 v[24:25], 3, v[25:26]
	v_addc_co_u32_e32 v47, vcc, v1, v27, vcc
	v_add_co_u32_e32 v26, vcc, s16, v24
	v_addc_co_u32_e32 v27, vcc, v1, v25, vcc
	v_lshlrev_b64 v[24:25], 3, v[7:8]
	v_mov_b32_e32 v7, s17
	v_add_co_u32_e32 v48, vcc, s16, v24
	v_mov_b32_e32 v24, v8
	v_lshlrev_b64 v[22:23], 3, v[23:24]
	v_addc_co_u32_e32 v49, vcc, v1, v25, vcc
	v_add_co_u32_e32 v22, vcc, s16, v22
	v_addc_co_u32_e32 v23, vcc, v1, v23, vcc
	v_mov_b32_e32 v1, v8
	v_lshlrev_b64 v[0:1], 3, v[0:1]
	global_load_dwordx2 v[50:51], v[46:47], off
	global_load_dwordx2 v[52:53], v[26:27], off
	;; [unrolled: 1-line block ×4, first 2 shown]
	v_mov_b32_e32 v22, v8
	v_add_co_u32_e32 v0, vcc, s16, v0
	v_lshlrev_b64 v[20:21], 3, v[21:22]
	v_addc_co_u32_e32 v1, vcc, v7, v1, vcc
	v_add_co_u32_e32 v20, vcc, s16, v20
	v_addc_co_u32_e32 v21, vcc, v7, v21, vcc
	global_load_dwordx2 v[26:27], v[20:21], off
	v_mov_b32_e32 v20, v8
	v_lshlrev_b64 v[18:19], 3, v[19:20]
	global_load_dwordx2 v[0:1], v[0:1], off
	v_add_co_u32_e32 v18, vcc, s16, v18
	v_addc_co_u32_e32 v19, vcc, v7, v19, vcc
	global_load_dwordx2 v[58:59], v[18:19], off
	v_mov_b32_e32 v18, v8
	v_lshlrev_b64 v[18:19], 3, v[17:18]
	v_add_co_u32_e32 v18, vcc, s16, v18
	v_addc_co_u32_e32 v19, vcc, v7, v19, vcc
	global_load_dwordx2 v[60:61], v[18:19], off
	ds_read2_b64 v[18:21], v5 offset0:2 offset1:3
	ds_read2_b64 v[22:25], v5 offset0:4 offset1:5
	;; [unrolled: 1-line block ×3, first 2 shown]
	s_waitcnt vmcnt(7)
	v_fma_f32 v2, s28, v50, v2
	v_fmac_f32_e32 v3, s31, v50
	s_waitcnt vmcnt(6) lgkmcnt(2)
	v_fma_f32 v7, s28, v52, v18
	v_fma_f32 v19, s31, v52, v19
	s_waitcnt vmcnt(5)
	v_fma_f32 v20, s28, v54, v20
	v_fmac_f32_e32 v21, s31, v54
	s_waitcnt vmcnt(4) lgkmcnt(1)
	v_fma_f32 v22, s28, v56, v22
	v_fma_f32 v23, s31, v56, v23
	v_fma_f32 v2, -s31, v51, v2
	v_fmac_f32_e32 v3, s28, v51
	v_fma_f32 v18, -s31, v53, v7
	v_fmac_f32_e32 v19, s28, v53
	;; [unrolled: 2-line block ×4, first 2 shown]
	ds_write2_b64 v5, v[2:3], v[18:19] offset0:1 offset1:2
	ds_write2_b64 v5, v[20:21], v[22:23] offset0:3 offset1:4
	s_waitcnt vmcnt(2)
	v_fma_f32 v24, s28, v0, v24
	v_fmac_f32_e32 v25, s31, v0
	v_fma_f32 v24, -s31, v1, v24
	v_fmac_f32_e32 v25, s28, v1
	ds_read_b64 v[0:1], v5 offset:64
	s_waitcnt lgkmcnt(3)
	v_fma_f32 v2, s28, v26, v46
	v_fma_f32 v3, s31, v26, v47
	v_fma_f32 v2, -s31, v27, v2
	v_fmac_f32_e32 v3, s28, v27
	s_waitcnt vmcnt(1)
	v_fmac_f32_e32 v49, s31, v58
	ds_write2_b64 v5, v[24:25], v[2:3] offset0:5 offset1:6
	v_fma_f32 v2, s28, v58, v48
	v_fmac_f32_e32 v49, s28, v59
	s_waitcnt vmcnt(0) lgkmcnt(1)
	v_fma_f32 v0, s28, v60, v0
	v_fmac_f32_e32 v1, s31, v60
	v_fma_f32 v2, -s31, v59, v2
	v_fma_f32 v0, -s31, v61, v0
	v_fmac_f32_e32 v1, s28, v61
	v_mov_b32_e32 v3, v49
	ds_write2_b64 v5, v[2:3], v[0:1] offset0:7 offset1:8
.LBB19_35:                              ;   in Loop: Header=BB19_28 Depth=2
	s_or_b64 exec, exec, s[20:21]
	s_mov_b64 s[20:21], -1
	s_and_saveexec_b64 s[34:35], s[2:3]
	s_cbranch_execz .LBB19_27
; %bb.36:                               ;   in Loop: Header=BB19_28 Depth=2
	v_add_u32_e32 v6, 64, v6
	v_cmp_ge_i32_e32 vcc, v6, v32
	v_add_u32_e32 v17, 0x240, v17
	s_orn2_b64 s[20:21], vcc, exec
	s_branch .LBB19_27
.LBB19_37:                              ;   in Loop: Header=BB19_12 Depth=1
	s_or_b64 exec, exec, s[12:13]
.LBB19_38:                              ;   in Loop: Header=BB19_12 Depth=1
	s_or_b64 exec, exec, s[10:11]
	s_waitcnt lgkmcnt(0)
	ds_read_u8 v0, v42
	s_waitcnt lgkmcnt(0)
	v_and_b32_e32 v1, 1, v0
	v_cmp_eq_u32_e64 s[2:3], 1, v1
	v_cmp_ne_u16_e32 vcc, 0, v0
	s_and_saveexec_b64 s[10:11], s[2:3]
	s_cbranch_execz .LBB19_11
; %bb.39:                               ;   in Loop: Header=BB19_12 Depth=1
	v_and_b32_e32 v1, vcc_lo, v9
	v_and_b32_e32 v0, vcc_hi, v10
	v_bcnt_u32_b32 v1, v1, 0
	v_bcnt_u32_b32 v0, v0, v1
	v_add3_u32 v0, v33, v0, -1
	v_ashrrev_i32_e32 v1, 31, v0
	v_lshlrev_b64 v[1:2], 2, v[0:1]
	v_mov_b32_e32 v5, s25
	v_add_co_u32_e64 v1, s[2:3], s24, v1
	v_add_u32_e32 v3, v35, v45
	v_addc_co_u32_e64 v2, s[2:3], v5, v2, s[2:3]
	global_store_dword v[1:2], v3, off
	v_lshl_add_u32 v7, v0, 3, v0
	ds_read2_b64 v[0:3], v34 offset1:4
	v_lshlrev_b64 v[17:18], 3, v[7:8]
	v_mov_b32_e32 v5, s27
	v_add_co_u32_e64 v17, s[2:3], s26, v17
	v_addc_co_u32_e64 v18, s[2:3], v5, v18, s[2:3]
	s_waitcnt lgkmcnt(0)
	global_store_dwordx2 v[17:18], v[0:1], off
	v_add_u32_e32 v0, 1, v7
	v_mov_b32_e32 v1, v8
	v_lshlrev_b64 v[0:1], 3, v[0:1]
	v_add_u32_e32 v17, 2, v7
	v_mov_b32_e32 v18, v8
	v_add_co_u32_e64 v0, s[2:3], s26, v0
	v_lshlrev_b64 v[17:18], 3, v[17:18]
	v_addc_co_u32_e64 v1, s[2:3], v5, v1, s[2:3]
	v_add_u32_e32 v19, 3, v7
	v_mov_b32_e32 v20, v8
	v_add_co_u32_e64 v17, s[2:3], s26, v17
	v_lshlrev_b64 v[19:20], 3, v[19:20]
	v_addc_co_u32_e64 v18, s[2:3], v5, v18, s[2:3]
	;; [unrolled: 5-line block ×6, first 2 shown]
	v_add_u32_e32 v7, 8, v7
	v_add_co_u32_e64 v27, s[2:3], s26, v27
	v_lshlrev_b64 v[45:46], 3, v[7:8]
	v_addc_co_u32_e64 v28, s[2:3], v5, v28, s[2:3]
	v_add_co_u32_e64 v45, s[2:3], s26, v45
	v_addc_co_u32_e64 v46, s[2:3], v5, v46, s[2:3]
	v_add_u32_e32 v5, s30, v34
	v_add_u32_e32 v7, s36, v34
	ds_read_b64 v[47:48], v5
	ds_read_b64 v[49:50], v7
	v_add_u32_e32 v5, s37, v34
	ds_read_b64 v[51:52], v5
	ds_read_b64 v[53:54], v34 offset:64
	s_waitcnt lgkmcnt(3)
	global_store_dwordx2 v[0:1], v[47:48], off
	s_waitcnt lgkmcnt(2)
	global_store_dwordx2 v[17:18], v[49:50], off
	v_add_u32_e32 v0, s38, v34
	v_add_u32_e32 v5, s39, v34
	;; [unrolled: 1-line block ×3, first 2 shown]
	ds_read_b64 v[0:1], v0
	ds_read_b64 v[17:18], v5
	;; [unrolled: 1-line block ×3, first 2 shown]
	s_waitcnt lgkmcnt(4)
	global_store_dwordx2 v[19:20], v[51:52], off
	global_store_dwordx2 v[21:22], v[2:3], off
	s_waitcnt lgkmcnt(2)
	global_store_dwordx2 v[23:24], v[0:1], off
	s_waitcnt lgkmcnt(1)
	;; [unrolled: 2-line block ×3, first 2 shown]
	global_store_dwordx2 v[27:28], v[47:48], off
	global_store_dwordx2 v[45:46], v[53:54], off
	s_branch .LBB19_11
.LBB19_40:
	s_endpgm
.LBB19_41:
	s_load_dword s33, s[28:29], 0x0
	v_cndmask_b32_e64 v1, 0, 1, s[2:3]
	v_cmp_ne_u32_e64 s[0:1], 1, v1
	s_andn2_b64 vcc, exec, s[2:3]
	s_cbranch_vccnz .LBB19_2
.LBB19_42:
	s_load_dword s29, s[28:29], 0x4
	s_and_b64 vcc, exec, s[0:1]
	s_mov_b32 s28, s30
	s_cbranch_vccnz .LBB19_3
.LBB19_43:
	s_load_dword s28, s[30:31], 0x0
	s_and_b64 vcc, exec, s[0:1]
	s_cbranch_vccz .LBB19_4
	s_branch .LBB19_5
	.section	.rodata,"a",@progbits
	.p2align	6, 0x0
	.amdhsa_kernel _ZN9rocsparseL39bsrgeam_wf_per_row_multipass_2_3_kernelILj256ELj3ELj64E21rocsparse_complex_numIfEEEv20rocsparse_direction_iiiNS_24const_host_device_scalarIT2_EEPKiS8_PKS5_S6_S8_S8_SA_S8_PiPS5_21rocsparse_index_base_SD_SD_b
		.amdhsa_group_segment_fixed_size 18688
		.amdhsa_private_segment_fixed_size 0
		.amdhsa_kernarg_size 120
		.amdhsa_user_sgpr_count 6
		.amdhsa_user_sgpr_private_segment_buffer 1
		.amdhsa_user_sgpr_dispatch_ptr 0
		.amdhsa_user_sgpr_queue_ptr 0
		.amdhsa_user_sgpr_kernarg_segment_ptr 1
		.amdhsa_user_sgpr_dispatch_id 0
		.amdhsa_user_sgpr_flat_scratch_init 0
		.amdhsa_user_sgpr_private_segment_size 0
		.amdhsa_uses_dynamic_stack 0
		.amdhsa_system_sgpr_private_segment_wavefront_offset 0
		.amdhsa_system_sgpr_workgroup_id_x 1
		.amdhsa_system_sgpr_workgroup_id_y 0
		.amdhsa_system_sgpr_workgroup_id_z 0
		.amdhsa_system_sgpr_workgroup_info 0
		.amdhsa_system_vgpr_workitem_id 0
		.amdhsa_next_free_vgpr 76
		.amdhsa_next_free_sgpr 98
		.amdhsa_reserve_vcc 1
		.amdhsa_reserve_flat_scratch 0
		.amdhsa_float_round_mode_32 0
		.amdhsa_float_round_mode_16_64 0
		.amdhsa_float_denorm_mode_32 3
		.amdhsa_float_denorm_mode_16_64 3
		.amdhsa_dx10_clamp 1
		.amdhsa_ieee_mode 1
		.amdhsa_fp16_overflow 0
		.amdhsa_exception_fp_ieee_invalid_op 0
		.amdhsa_exception_fp_denorm_src 0
		.amdhsa_exception_fp_ieee_div_zero 0
		.amdhsa_exception_fp_ieee_overflow 0
		.amdhsa_exception_fp_ieee_underflow 0
		.amdhsa_exception_fp_ieee_inexact 0
		.amdhsa_exception_int_div_zero 0
	.end_amdhsa_kernel
	.section	.text._ZN9rocsparseL39bsrgeam_wf_per_row_multipass_2_3_kernelILj256ELj3ELj64E21rocsparse_complex_numIfEEEv20rocsparse_direction_iiiNS_24const_host_device_scalarIT2_EEPKiS8_PKS5_S6_S8_S8_SA_S8_PiPS5_21rocsparse_index_base_SD_SD_b,"axG",@progbits,_ZN9rocsparseL39bsrgeam_wf_per_row_multipass_2_3_kernelILj256ELj3ELj64E21rocsparse_complex_numIfEEEv20rocsparse_direction_iiiNS_24const_host_device_scalarIT2_EEPKiS8_PKS5_S6_S8_S8_SA_S8_PiPS5_21rocsparse_index_base_SD_SD_b,comdat
.Lfunc_end19:
	.size	_ZN9rocsparseL39bsrgeam_wf_per_row_multipass_2_3_kernelILj256ELj3ELj64E21rocsparse_complex_numIfEEEv20rocsparse_direction_iiiNS_24const_host_device_scalarIT2_EEPKiS8_PKS5_S6_S8_S8_SA_S8_PiPS5_21rocsparse_index_base_SD_SD_b, .Lfunc_end19-_ZN9rocsparseL39bsrgeam_wf_per_row_multipass_2_3_kernelILj256ELj3ELj64E21rocsparse_complex_numIfEEEv20rocsparse_direction_iiiNS_24const_host_device_scalarIT2_EEPKiS8_PKS5_S6_S8_S8_SA_S8_PiPS5_21rocsparse_index_base_SD_SD_b
                                        ; -- End function
	.set _ZN9rocsparseL39bsrgeam_wf_per_row_multipass_2_3_kernelILj256ELj3ELj64E21rocsparse_complex_numIfEEEv20rocsparse_direction_iiiNS_24const_host_device_scalarIT2_EEPKiS8_PKS5_S6_S8_S8_SA_S8_PiPS5_21rocsparse_index_base_SD_SD_b.num_vgpr, 76
	.set _ZN9rocsparseL39bsrgeam_wf_per_row_multipass_2_3_kernelILj256ELj3ELj64E21rocsparse_complex_numIfEEEv20rocsparse_direction_iiiNS_24const_host_device_scalarIT2_EEPKiS8_PKS5_S6_S8_S8_SA_S8_PiPS5_21rocsparse_index_base_SD_SD_b.num_agpr, 0
	.set _ZN9rocsparseL39bsrgeam_wf_per_row_multipass_2_3_kernelILj256ELj3ELj64E21rocsparse_complex_numIfEEEv20rocsparse_direction_iiiNS_24const_host_device_scalarIT2_EEPKiS8_PKS5_S6_S8_S8_SA_S8_PiPS5_21rocsparse_index_base_SD_SD_b.numbered_sgpr, 41
	.set _ZN9rocsparseL39bsrgeam_wf_per_row_multipass_2_3_kernelILj256ELj3ELj64E21rocsparse_complex_numIfEEEv20rocsparse_direction_iiiNS_24const_host_device_scalarIT2_EEPKiS8_PKS5_S6_S8_S8_SA_S8_PiPS5_21rocsparse_index_base_SD_SD_b.num_named_barrier, 0
	.set _ZN9rocsparseL39bsrgeam_wf_per_row_multipass_2_3_kernelILj256ELj3ELj64E21rocsparse_complex_numIfEEEv20rocsparse_direction_iiiNS_24const_host_device_scalarIT2_EEPKiS8_PKS5_S6_S8_S8_SA_S8_PiPS5_21rocsparse_index_base_SD_SD_b.private_seg_size, 0
	.set _ZN9rocsparseL39bsrgeam_wf_per_row_multipass_2_3_kernelILj256ELj3ELj64E21rocsparse_complex_numIfEEEv20rocsparse_direction_iiiNS_24const_host_device_scalarIT2_EEPKiS8_PKS5_S6_S8_S8_SA_S8_PiPS5_21rocsparse_index_base_SD_SD_b.uses_vcc, 1
	.set _ZN9rocsparseL39bsrgeam_wf_per_row_multipass_2_3_kernelILj256ELj3ELj64E21rocsparse_complex_numIfEEEv20rocsparse_direction_iiiNS_24const_host_device_scalarIT2_EEPKiS8_PKS5_S6_S8_S8_SA_S8_PiPS5_21rocsparse_index_base_SD_SD_b.uses_flat_scratch, 0
	.set _ZN9rocsparseL39bsrgeam_wf_per_row_multipass_2_3_kernelILj256ELj3ELj64E21rocsparse_complex_numIfEEEv20rocsparse_direction_iiiNS_24const_host_device_scalarIT2_EEPKiS8_PKS5_S6_S8_S8_SA_S8_PiPS5_21rocsparse_index_base_SD_SD_b.has_dyn_sized_stack, 0
	.set _ZN9rocsparseL39bsrgeam_wf_per_row_multipass_2_3_kernelILj256ELj3ELj64E21rocsparse_complex_numIfEEEv20rocsparse_direction_iiiNS_24const_host_device_scalarIT2_EEPKiS8_PKS5_S6_S8_S8_SA_S8_PiPS5_21rocsparse_index_base_SD_SD_b.has_recursion, 0
	.set _ZN9rocsparseL39bsrgeam_wf_per_row_multipass_2_3_kernelILj256ELj3ELj64E21rocsparse_complex_numIfEEEv20rocsparse_direction_iiiNS_24const_host_device_scalarIT2_EEPKiS8_PKS5_S6_S8_S8_SA_S8_PiPS5_21rocsparse_index_base_SD_SD_b.has_indirect_call, 0
	.section	.AMDGPU.csdata,"",@progbits
; Kernel info:
; codeLenInByte = 4160
; TotalNumSgprs: 45
; NumVgprs: 76
; ScratchSize: 0
; MemoryBound: 0
; FloatMode: 240
; IeeeMode: 1
; LDSByteSize: 18688 bytes/workgroup (compile time only)
; SGPRBlocks: 12
; VGPRBlocks: 18
; NumSGPRsForWavesPerEU: 102
; NumVGPRsForWavesPerEU: 76
; Occupancy: 3
; WaveLimiterHint : 1
; COMPUTE_PGM_RSRC2:SCRATCH_EN: 0
; COMPUTE_PGM_RSRC2:USER_SGPR: 6
; COMPUTE_PGM_RSRC2:TRAP_HANDLER: 0
; COMPUTE_PGM_RSRC2:TGID_X_EN: 1
; COMPUTE_PGM_RSRC2:TGID_Y_EN: 0
; COMPUTE_PGM_RSRC2:TGID_Z_EN: 0
; COMPUTE_PGM_RSRC2:TIDIG_COMP_CNT: 0
	.section	.text._ZN9rocsparseL35bsrgeam_wf_per_row_multipass_kernelILj64ELj4E21rocsparse_complex_numIfEEEv20rocsparse_direction_iiiNS_24const_host_device_scalarIT1_EEPKiS8_PKS5_S6_S8_S8_SA_S8_PiPS5_21rocsparse_index_base_SD_SD_b,"axG",@progbits,_ZN9rocsparseL35bsrgeam_wf_per_row_multipass_kernelILj64ELj4E21rocsparse_complex_numIfEEEv20rocsparse_direction_iiiNS_24const_host_device_scalarIT1_EEPKiS8_PKS5_S6_S8_S8_SA_S8_PiPS5_21rocsparse_index_base_SD_SD_b,comdat
	.globl	_ZN9rocsparseL35bsrgeam_wf_per_row_multipass_kernelILj64ELj4E21rocsparse_complex_numIfEEEv20rocsparse_direction_iiiNS_24const_host_device_scalarIT1_EEPKiS8_PKS5_S6_S8_S8_SA_S8_PiPS5_21rocsparse_index_base_SD_SD_b ; -- Begin function _ZN9rocsparseL35bsrgeam_wf_per_row_multipass_kernelILj64ELj4E21rocsparse_complex_numIfEEEv20rocsparse_direction_iiiNS_24const_host_device_scalarIT1_EEPKiS8_PKS5_S6_S8_S8_SA_S8_PiPS5_21rocsparse_index_base_SD_SD_b
	.p2align	8
	.type	_ZN9rocsparseL35bsrgeam_wf_per_row_multipass_kernelILj64ELj4E21rocsparse_complex_numIfEEEv20rocsparse_direction_iiiNS_24const_host_device_scalarIT1_EEPKiS8_PKS5_S6_S8_S8_SA_S8_PiPS5_21rocsparse_index_base_SD_SD_b,@function
_ZN9rocsparseL35bsrgeam_wf_per_row_multipass_kernelILj64ELj4E21rocsparse_complex_numIfEEEv20rocsparse_direction_iiiNS_24const_host_device_scalarIT1_EEPKiS8_PKS5_S6_S8_S8_SA_S8_PiPS5_21rocsparse_index_base_SD_SD_b: ; @_ZN9rocsparseL35bsrgeam_wf_per_row_multipass_kernelILj64ELj4E21rocsparse_complex_numIfEEEv20rocsparse_direction_iiiNS_24const_host_device_scalarIT1_EEPKiS8_PKS5_S6_S8_S8_SA_S8_PiPS5_21rocsparse_index_base_SD_SD_b
; %bb.0:
	s_load_dwordx4 s[8:11], s[4:5], 0x68
	s_load_dwordx2 s[20:21], s[4:5], 0x10
	s_load_dwordx2 s[22:23], s[4:5], 0x30
	s_waitcnt lgkmcnt(0)
	s_bitcmp1_b32 s11, 0
	s_cselect_b64 s[0:1], -1, 0
	s_xor_b64 s[2:3], s[0:1], -1
	s_and_b64 vcc, exec, s[0:1]
	s_mov_b32 s11, s20
	s_cbranch_vccnz .LBB20_4
; %bb.1:
	s_load_dword s11, s[20:21], 0x0
	v_cndmask_b32_e64 v1, 0, 1, s[2:3]
	v_cmp_ne_u32_e64 s[0:1], 1, v1
	s_andn2_b64 vcc, exec, s[2:3]
	s_cbranch_vccz .LBB20_5
.LBB20_2:
	s_and_b64 vcc, exec, s[0:1]
	s_mov_b32 s20, s22
	s_cbranch_vccnz .LBB20_6
.LBB20_3:
	s_load_dword s20, s[22:23], 0x0
	s_load_dwordx2 s[16:17], s[4:5], 0x18
	s_and_b64 vcc, exec, s[0:1]
	s_cbranch_vccz .LBB20_7
	s_branch .LBB20_8
.LBB20_4:
	v_cndmask_b32_e64 v1, 0, 1, s[2:3]
	v_cmp_ne_u32_e64 s[0:1], 1, v1
	s_andn2_b64 vcc, exec, s[2:3]
	s_cbranch_vccnz .LBB20_2
.LBB20_5:
	s_load_dword s21, s[20:21], 0x4
	s_and_b64 vcc, exec, s[0:1]
	s_mov_b32 s20, s22
	s_cbranch_vccz .LBB20_3
.LBB20_6:
	s_load_dwordx2 s[16:17], s[4:5], 0x18
	s_and_b64 vcc, exec, s[0:1]
	s_cbranch_vccnz .LBB20_8
.LBB20_7:
	s_load_dword s23, s[22:23], 0x4
.LBB20_8:
	s_nop 0
	s_load_dwordx4 s[12:15], s[4:5], 0x0
	v_lshrrev_b32_e32 v8, 4, v0
	v_lshl_or_b32 v6, s6, 2, v8
	v_mov_b32_e32 v15, 0
	v_ashrrev_i32_e32 v7, 31, v6
	s_waitcnt lgkmcnt(0)
	v_cmp_le_i32_e32 vcc, s13, v6
	v_cmp_gt_i32_e64 s[0:1], s13, v6
	v_mov_b32_e32 v1, 0
	s_and_saveexec_b64 s[6:7], s[0:1]
	s_cbranch_execz .LBB20_10
; %bb.9:
	v_lshlrev_b64 v[1:2], 2, v[6:7]
	v_mov_b32_e32 v3, s17
	v_add_co_u32_e64 v1, s[2:3], s16, v1
	v_addc_co_u32_e64 v2, s[2:3], v3, v2, s[2:3]
	global_load_dword v1, v[1:2], off
	s_waitcnt vmcnt(0)
	v_subrev_u32_e32 v1, s8, v1
.LBB20_10:
	s_or_b64 exec, exec, s[6:7]
	s_load_dwordx2 s[6:7], s[4:5], 0x38
	s_and_saveexec_b64 s[18:19], s[0:1]
	s_cbranch_execz .LBB20_12
; %bb.11:
	v_lshlrev_b64 v[2:3], 2, v[6:7]
	v_mov_b32_e32 v4, s17
	v_add_co_u32_e64 v2, s[2:3], s16, v2
	v_addc_co_u32_e64 v3, s[2:3], v4, v3, s[2:3]
	global_load_dword v2, v[2:3], off offset:4
	s_waitcnt vmcnt(0)
	v_subrev_u32_e32 v15, s8, v2
.LBB20_12:
	s_or_b64 exec, exec, s[18:19]
	v_mov_b32_e32 v16, 0
	v_mov_b32_e32 v3, 0
	s_and_saveexec_b64 s[16:17], s[0:1]
	s_cbranch_execz .LBB20_14
; %bb.13:
	v_lshlrev_b64 v[2:3], 2, v[6:7]
	s_waitcnt lgkmcnt(0)
	v_mov_b32_e32 v4, s7
	v_add_co_u32_e64 v2, s[2:3], s6, v2
	v_addc_co_u32_e64 v3, s[2:3], v4, v3, s[2:3]
	global_load_dword v2, v[2:3], off
	s_waitcnt vmcnt(0)
	v_subrev_u32_e32 v3, s9, v2
.LBB20_14:
	s_or_b64 exec, exec, s[16:17]
	s_and_saveexec_b64 s[16:17], s[0:1]
	s_cbranch_execz .LBB20_16
; %bb.15:
	v_lshlrev_b64 v[4:5], 2, v[6:7]
	s_waitcnt lgkmcnt(0)
	v_mov_b32_e32 v2, s7
	v_add_co_u32_e64 v4, s[2:3], s6, v4
	v_addc_co_u32_e64 v5, s[2:3], v2, v5, s[2:3]
	global_load_dword v2, v[4:5], off offset:4
	s_waitcnt vmcnt(0)
	v_subrev_u32_e32 v16, s9, v2
.LBB20_16:
	s_or_b64 exec, exec, s[16:17]
	s_load_dwordx2 s[24:25], s[4:5], 0x20
	v_mov_b32_e32 v5, 0
	s_and_saveexec_b64 s[2:3], s[0:1]
	s_cbranch_execz .LBB20_18
; %bb.17:
	s_load_dwordx2 s[0:1], s[4:5], 0x50
	v_lshlrev_b64 v[4:5], 2, v[6:7]
	s_waitcnt lgkmcnt(0)
	v_mov_b32_e32 v2, s1
	v_add_co_u32_e64 v4, s[0:1], s0, v4
	v_addc_co_u32_e64 v5, s[0:1], v2, v5, s[0:1]
	global_load_dword v2, v[4:5], off
	s_waitcnt vmcnt(0)
	v_subrev_u32_e32 v5, s10, v2
.LBB20_18:
	s_or_b64 exec, exec, s[2:3]
	s_load_dwordx2 s[26:27], s[4:5], 0x40
	v_cmp_lt_i32_e64 s[0:1], v1, v15
	v_mov_b32_e32 v2, s14
	s_and_saveexec_b64 s[2:3], s[0:1]
	s_cbranch_execz .LBB20_20
; %bb.19:
	v_ashrrev_i32_e32 v2, 31, v1
	v_lshlrev_b64 v[6:7], 2, v[1:2]
	s_waitcnt lgkmcnt(0)
	v_mov_b32_e32 v2, s25
	v_add_co_u32_e64 v6, s[0:1], s24, v6
	v_addc_co_u32_e64 v7, s[0:1], v2, v7, s[0:1]
	global_load_dword v2, v[6:7], off
	s_waitcnt vmcnt(0)
	v_subrev_u32_e32 v2, s8, v2
.LBB20_20:
	s_or_b64 exec, exec, s[2:3]
	v_cmp_lt_i32_e64 s[0:1], v3, v16
	v_mov_b32_e32 v4, s14
	s_and_saveexec_b64 s[2:3], s[0:1]
	s_cbranch_execz .LBB20_22
; %bb.21:
	v_ashrrev_i32_e32 v4, 31, v3
	v_lshlrev_b64 v[6:7], 2, v[3:4]
	s_waitcnt lgkmcnt(0)
	v_mov_b32_e32 v4, s27
	v_add_co_u32_e64 v6, s[0:1], s26, v6
	v_addc_co_u32_e64 v7, s[0:1], v4, v7, s[0:1]
	global_load_dword v4, v[6:7], off
	s_waitcnt vmcnt(0)
	v_subrev_u32_e32 v4, s9, v4
.LBB20_22:
	s_or_b64 exec, exec, s[2:3]
	v_cndmask_b32_e64 v7, 0, 1, vcc
	v_lshlrev_b32_e32 v6, 2, v8
	ds_write_b32 v6, v7 offset:512
	v_mov_b32_e32 v7, 0
	s_waitcnt lgkmcnt(0)
	; wave barrier
	ds_read_b32 v9, v7 offset:512
	s_waitcnt lgkmcnt(0)
	v_cmp_lt_u32_e32 vcc, 3, v9
	s_cbranch_vccnz .LBB20_65
; %bb.23:
	v_or_b32_e32 v17, 0x200, v6
	v_and_b32_e32 v9, 3, v0
	v_bfe_u32 v10, v0, 2, 2
	v_min_i32_e32 v6, v4, v2
	v_mov_b32_e32 v2, 0x210
	s_load_dwordx4 s[16:19], s[4:5], 0x58
	s_load_dwordx2 s[28:29], s[4:5], 0x28
	s_load_dwordx2 s[30:31], s[4:5], 0x48
	v_lshl_or_b32 v18, v8, 2, v2
	v_max_i32_e32 v2, v10, v9
	v_cmp_gt_i32_e64 s[0:1], s15, v2
	v_and_b32_e32 v2, 48, v0
	v_lshlrev_b32_e32 v2, 3, v2
	v_lshlrev_b32_e32 v4, 5, v10
	;; [unrolled: 1-line block ×3, first 2 shown]
	v_or3_b32 v20, v2, v4, v8
	v_lshlrev_b32_e32 v4, 5, v9
	v_lshlrev_b32_e32 v8, 3, v10
	s_cmp_lg_u32 s12, 0
	v_or3_b32 v21, v2, v4, v8
	v_mov_b32_e32 v2, 0x200
	v_lshlrev_b32_e32 v19, 3, v0
	s_cselect_b64 s[12:13], -1, 0
	v_cmp_gt_u32_e64 s[2:3], 2, v0
	v_lshl_or_b32 v22, v0, 2, v2
	v_cmp_eq_u32_e64 s[4:5], 0, v0
	s_mul_i32 s22, s15, s15
	v_mov_b32_e32 v8, v7
	v_mov_b32_e32 v0, 1
	s_branch .LBB20_25
.LBB20_24:                              ;   in Loop: Header=BB20_25 Depth=1
	s_or_b64 exec, exec, s[6:7]
	s_waitcnt lgkmcnt(0)
	; wave barrier
	ds_read_b32 v4, v7 offset:512
	v_add_u32_e32 v5, 1, v5
	v_mov_b32_e32 v6, v2
	s_waitcnt lgkmcnt(0)
	v_cmp_gt_u32_e32 vcc, 4, v4
	s_cbranch_vccz .LBB20_65
.LBB20_25:                              ; =>This Loop Header: Depth=1
                                        ;     Child Loop BB20_28 Depth 2
                                        ;     Child Loop BB20_43 Depth 2
	v_cmp_lt_i32_e32 vcc, v1, v15
	v_mov_b32_e32 v2, s14
	ds_write_b32 v18, v7
	ds_write_b64 v19, v[7:8]
	s_waitcnt lgkmcnt(0)
	; wave barrier
	s_and_saveexec_b64 s[34:35], vcc
	s_cbranch_execz .LBB20_40
; %bb.26:                               ;   in Loop: Header=BB20_25 Depth=1
	v_mul_lo_u32 v2, s15, v1
	s_mov_b64 s[36:37], 0
	v_add_u32_e32 v4, v9, v2
	v_add_u32_e32 v2, v10, v2
	v_mad_u64_u32 v[11:12], s[6:7], s15, v4, v[10:11]
	v_mad_u64_u32 v[12:13], s[6:7], s15, v2, v[9:10]
	v_ashrrev_i32_e32 v2, 31, v1
	v_lshlrev_b64 v[13:14], 2, v[1:2]
	v_mov_b32_e32 v2, s25
	v_add_co_u32_e32 v13, vcc, s24, v13
	v_addc_co_u32_e32 v14, vcc, v2, v14, vcc
	v_mov_b32_e32 v4, 0
	v_mov_b32_e32 v2, s14
	s_branch .LBB20_28
.LBB20_27:                              ;   in Loop: Header=BB20_28 Depth=2
	s_or_b64 exec, exec, s[40:41]
	s_and_b64 s[6:7], exec, s[38:39]
	v_mov_b32_e32 v24, v1
	s_or_b64 s[36:37], s[6:7], s[36:37]
	v_mov_b32_e32 v1, v23
	s_andn2_b64 exec, exec, s[36:37]
	s_cbranch_execz .LBB20_39
.LBB20_28:                              ;   Parent Loop BB20_25 Depth=1
                                        ; =>  This Inner Loop Header: Depth=2
	global_load_dword v23, v[13:14], off
	s_waitcnt vmcnt(0)
	v_subrev_u32_e32 v23, s8, v23
	v_cmp_le_i32_e64 s[6:7], v23, v6
	s_and_saveexec_b64 s[38:39], s[6:7]
	s_xor_b64 s[38:39], exec, s[38:39]
	s_cbranch_execz .LBB20_34
; %bb.29:                               ;   in Loop: Header=BB20_28 Depth=2
	ds_write_b32 v18, v0
	s_and_saveexec_b64 s[40:41], s[0:1]
	s_cbranch_execz .LBB20_33
; %bb.30:                               ;   in Loop: Header=BB20_28 Depth=2
	s_and_b64 vcc, exec, s[12:13]
	s_cbranch_vccz .LBB20_38
; %bb.31:                               ;   in Loop: Header=BB20_28 Depth=2
	v_add_u32_e32 v23, v12, v4
	v_ashrrev_i32_e32 v24, 31, v23
	v_lshlrev_b64 v[23:24], 3, v[23:24]
	v_mov_b32_e32 v25, s29
	v_add_co_u32_e32 v23, vcc, s28, v23
	v_addc_co_u32_e32 v24, vcc, v25, v24, vcc
	global_load_dwordx2 v[23:24], v[23:24], off
	s_waitcnt vmcnt(0)
	v_mul_f32_e64 v25, v24, -s21
	v_mul_f32_e32 v26, s11, v24
	v_fmac_f32_e32 v25, s11, v23
	v_fmac_f32_e32 v26, s21, v23
	ds_write_b64 v20, v[25:26]
	s_cbranch_execnz .LBB20_33
.LBB20_32:                              ;   in Loop: Header=BB20_28 Depth=2
	v_add_u32_e32 v23, v11, v4
	v_ashrrev_i32_e32 v24, 31, v23
	v_lshlrev_b64 v[23:24], 3, v[23:24]
	v_mov_b32_e32 v25, s29
	v_add_co_u32_e32 v23, vcc, s28, v23
	v_addc_co_u32_e32 v24, vcc, v25, v24, vcc
	global_load_dwordx2 v[23:24], v[23:24], off
	s_waitcnt vmcnt(0)
	v_mul_f32_e64 v25, v24, -s21
	v_mul_f32_e32 v26, s11, v24
	v_fmac_f32_e32 v25, s11, v23
	v_fmac_f32_e32 v26, s21, v23
	ds_write_b64 v21, v[25:26]
.LBB20_33:                              ;   in Loop: Header=BB20_28 Depth=2
	s_or_b64 exec, exec, s[40:41]
                                        ; implicit-def: $vgpr23
	s_andn2_saveexec_b64 s[38:39], s[38:39]
	s_branch .LBB20_35
.LBB20_34:                              ;   in Loop: Header=BB20_28 Depth=2
	s_andn2_saveexec_b64 s[38:39], s[38:39]
.LBB20_35:                              ;   in Loop: Header=BB20_28 Depth=2
	v_min_i32_e32 v2, v23, v2
; %bb.36:                               ;   in Loop: Header=BB20_28 Depth=2
	s_or_b64 exec, exec, s[38:39]
	s_mov_b64 s[38:39], -1
                                        ; implicit-def: $vgpr23
	s_and_saveexec_b64 s[40:41], s[6:7]
	s_cbranch_execz .LBB20_27
; %bb.37:                               ;   in Loop: Header=BB20_28 Depth=2
	v_add_co_u32_e32 v13, vcc, 4, v13
	v_add_u32_e32 v23, 1, v1
	v_addc_co_u32_e32 v14, vcc, 0, v14, vcc
	v_cmp_ge_i32_e32 vcc, v23, v15
	v_add_u32_e32 v4, s22, v4
	s_orn2_b64 s[38:39], vcc, exec
	v_mov_b32_e32 v1, v15
	s_branch .LBB20_27
.LBB20_38:                              ;   in Loop: Header=BB20_28 Depth=2
	s_branch .LBB20_32
.LBB20_39:                              ;   in Loop: Header=BB20_25 Depth=1
	s_or_b64 exec, exec, s[36:37]
	v_mov_b32_e32 v1, v24
.LBB20_40:                              ;   in Loop: Header=BB20_25 Depth=1
	s_or_b64 exec, exec, s[34:35]
	v_cmp_lt_i32_e32 vcc, v3, v16
	s_waitcnt lgkmcnt(0)
	; wave barrier
	s_and_saveexec_b64 s[34:35], vcc
	s_cbranch_execz .LBB20_55
; %bb.41:                               ;   in Loop: Header=BB20_25 Depth=1
	v_mul_lo_u32 v4, s15, v3
	s_mov_b64 s[36:37], 0
	v_add_u32_e32 v11, v9, v4
	v_add_u32_e32 v4, v10, v4
	v_mad_u64_u32 v[11:12], s[6:7], s15, v11, v[10:11]
	v_mad_u64_u32 v[12:13], s[6:7], s15, v4, v[9:10]
	v_ashrrev_i32_e32 v4, 31, v3
	v_lshlrev_b64 v[13:14], 2, v[3:4]
	v_mov_b32_e32 v4, s27
	v_add_co_u32_e32 v13, vcc, s26, v13
	v_addc_co_u32_e32 v14, vcc, v4, v14, vcc
	v_mov_b32_e32 v4, 0
	s_branch .LBB20_43
.LBB20_42:                              ;   in Loop: Header=BB20_43 Depth=2
	s_or_b64 exec, exec, s[40:41]
	s_and_b64 s[6:7], exec, s[38:39]
	v_mov_b32_e32 v24, v3
	s_or_b64 s[36:37], s[6:7], s[36:37]
	v_mov_b32_e32 v3, v23
	s_andn2_b64 exec, exec, s[36:37]
	s_cbranch_execz .LBB20_54
.LBB20_43:                              ;   Parent Loop BB20_25 Depth=1
                                        ; =>  This Inner Loop Header: Depth=2
	global_load_dword v23, v[13:14], off
	s_waitcnt vmcnt(0)
	v_subrev_u32_e32 v23, s9, v23
	v_cmp_le_i32_e64 s[6:7], v23, v6
	s_and_saveexec_b64 s[38:39], s[6:7]
	s_xor_b64 s[38:39], exec, s[38:39]
	s_cbranch_execz .LBB20_49
; %bb.44:                               ;   in Loop: Header=BB20_43 Depth=2
	ds_write_b32 v18, v0
	s_and_saveexec_b64 s[40:41], s[0:1]
	s_cbranch_execz .LBB20_48
; %bb.45:                               ;   in Loop: Header=BB20_43 Depth=2
	s_and_b64 vcc, exec, s[12:13]
	s_cbranch_vccz .LBB20_53
; %bb.46:                               ;   in Loop: Header=BB20_43 Depth=2
	v_add_u32_e32 v23, v12, v4
	v_ashrrev_i32_e32 v24, 31, v23
	v_lshlrev_b64 v[23:24], 3, v[23:24]
	v_mov_b32_e32 v25, s31
	v_add_co_u32_e32 v23, vcc, s30, v23
	v_addc_co_u32_e32 v24, vcc, v25, v24, vcc
	global_load_dwordx2 v[23:24], v[23:24], off
	ds_read_b64 v[25:26], v20
	s_waitcnt vmcnt(0) lgkmcnt(0)
	v_fma_f32 v25, s20, v23, v25
	v_fmac_f32_e32 v26, s23, v23
	v_fma_f32 v25, -s23, v24, v25
	v_fmac_f32_e32 v26, s20, v24
	ds_write_b64 v20, v[25:26]
	s_cbranch_execnz .LBB20_48
.LBB20_47:                              ;   in Loop: Header=BB20_43 Depth=2
	v_add_u32_e32 v23, v11, v4
	v_ashrrev_i32_e32 v24, 31, v23
	v_lshlrev_b64 v[23:24], 3, v[23:24]
	v_mov_b32_e32 v25, s31
	v_add_co_u32_e32 v23, vcc, s30, v23
	v_addc_co_u32_e32 v24, vcc, v25, v24, vcc
	global_load_dwordx2 v[23:24], v[23:24], off
	ds_read_b64 v[25:26], v21
	s_waitcnt vmcnt(0) lgkmcnt(0)
	v_fma_f32 v25, s20, v23, v25
	v_fmac_f32_e32 v26, s23, v23
	v_fma_f32 v25, -s23, v24, v25
	v_fmac_f32_e32 v26, s20, v24
	ds_write_b64 v21, v[25:26]
.LBB20_48:                              ;   in Loop: Header=BB20_43 Depth=2
	s_or_b64 exec, exec, s[40:41]
                                        ; implicit-def: $vgpr23
	s_andn2_saveexec_b64 s[38:39], s[38:39]
	s_branch .LBB20_50
.LBB20_49:                              ;   in Loop: Header=BB20_43 Depth=2
	s_andn2_saveexec_b64 s[38:39], s[38:39]
.LBB20_50:                              ;   in Loop: Header=BB20_43 Depth=2
	v_min_i32_e32 v2, v23, v2
; %bb.51:                               ;   in Loop: Header=BB20_43 Depth=2
	s_or_b64 exec, exec, s[38:39]
	s_mov_b64 s[38:39], -1
                                        ; implicit-def: $vgpr23
	s_and_saveexec_b64 s[40:41], s[6:7]
	s_cbranch_execz .LBB20_42
; %bb.52:                               ;   in Loop: Header=BB20_43 Depth=2
	v_add_co_u32_e32 v13, vcc, 4, v13
	v_add_u32_e32 v23, 1, v3
	v_addc_co_u32_e32 v14, vcc, 0, v14, vcc
	v_cmp_ge_i32_e32 vcc, v23, v16
	v_add_u32_e32 v4, s22, v4
	s_orn2_b64 s[38:39], vcc, exec
	v_mov_b32_e32 v3, v16
	s_branch .LBB20_42
.LBB20_53:                              ;   in Loop: Header=BB20_43 Depth=2
	s_branch .LBB20_47
.LBB20_54:                              ;   in Loop: Header=BB20_25 Depth=1
	s_or_b64 exec, exec, s[36:37]
	v_mov_b32_e32 v3, v24
.LBB20_55:                              ;   in Loop: Header=BB20_25 Depth=1
	s_or_b64 exec, exec, s[34:35]
	s_waitcnt lgkmcnt(0)
	; wave barrier
	ds_read_b32 v4, v18
	s_waitcnt lgkmcnt(0)
	v_cmp_ne_u32_e32 vcc, 0, v4
	s_and_saveexec_b64 s[6:7], vcc
	s_cbranch_execz .LBB20_60
; %bb.56:                               ;   in Loop: Header=BB20_25 Depth=1
	v_add_u32_e32 v4, s10, v6
	v_ashrrev_i32_e32 v6, 31, v5
	v_lshlrev_b64 v[11:12], 2, v[5:6]
	v_mov_b32_e32 v6, s17
	v_add_co_u32_e32 v11, vcc, s16, v11
	v_addc_co_u32_e32 v12, vcc, v6, v12, vcc
	global_store_dword v[11:12], v4, off
	s_and_b64 exec, exec, s[0:1]
	s_cbranch_execz .LBB20_60
; %bb.57:                               ;   in Loop: Header=BB20_25 Depth=1
	v_mul_lo_u32 v4, v5, s15
	s_and_b64 vcc, exec, s[12:13]
	s_cbranch_vccz .LBB20_64
; %bb.58:                               ;   in Loop: Header=BB20_25 Depth=1
	v_add_u32_e32 v6, v4, v10
	v_mad_u64_u32 v[11:12], s[34:35], v6, s15, v[9:10]
	ds_read_b64 v[13:14], v20
	v_mov_b32_e32 v6, s19
	v_ashrrev_i32_e32 v12, 31, v11
	v_lshlrev_b64 v[11:12], 3, v[11:12]
	v_add_co_u32_e32 v11, vcc, s18, v11
	v_addc_co_u32_e32 v12, vcc, v6, v12, vcc
	s_waitcnt lgkmcnt(0)
	global_store_dwordx2 v[11:12], v[13:14], off
	s_cbranch_execnz .LBB20_60
.LBB20_59:                              ;   in Loop: Header=BB20_25 Depth=1
	v_add_u32_e32 v4, v4, v9
	v_mad_u64_u32 v[11:12], s[34:35], v4, s15, v[10:11]
	ds_read_b64 v[13:14], v21
	v_mov_b32_e32 v4, s19
	v_ashrrev_i32_e32 v12, 31, v11
	v_lshlrev_b64 v[11:12], 3, v[11:12]
	v_add_co_u32_e32 v11, vcc, s18, v11
	v_addc_co_u32_e32 v12, vcc, v4, v12, vcc
	s_waitcnt lgkmcnt(0)
	global_store_dwordx2 v[11:12], v[13:14], off
.LBB20_60:                              ;   in Loop: Header=BB20_25 Depth=1
	s_or_b64 exec, exec, s[6:7]
	v_cmp_le_i32_e32 vcc, s14, v2
	v_cndmask_b32_e64 v4, 0, 1, vcc
	; wave barrier
	; wave barrier
	ds_write_b32 v17, v4
	s_waitcnt lgkmcnt(0)
	; wave barrier
	s_and_saveexec_b64 s[6:7], s[2:3]
	s_cbranch_execz .LBB20_62
; %bb.61:                               ;   in Loop: Header=BB20_25 Depth=1
	ds_read2_b32 v[11:12], v22 offset1:2
	s_waitcnt lgkmcnt(0)
	v_add_u32_e32 v4, v12, v11
	ds_write_b32 v22, v4
.LBB20_62:                              ;   in Loop: Header=BB20_25 Depth=1
	s_or_b64 exec, exec, s[6:7]
	s_waitcnt lgkmcnt(0)
	; wave barrier
	s_and_saveexec_b64 s[6:7], s[4:5]
	s_cbranch_execz .LBB20_24
; %bb.63:                               ;   in Loop: Header=BB20_25 Depth=1
	ds_read_b64 v[11:12], v7 offset:512
	s_waitcnt lgkmcnt(0)
	v_add_u32_e32 v4, v12, v11
	ds_write_b32 v7, v4 offset:512
	s_branch .LBB20_24
.LBB20_64:                              ;   in Loop: Header=BB20_25 Depth=1
	s_branch .LBB20_59
.LBB20_65:
	s_endpgm
	.section	.rodata,"a",@progbits
	.p2align	6, 0x0
	.amdhsa_kernel _ZN9rocsparseL35bsrgeam_wf_per_row_multipass_kernelILj64ELj4E21rocsparse_complex_numIfEEEv20rocsparse_direction_iiiNS_24const_host_device_scalarIT1_EEPKiS8_PKS5_S6_S8_S8_SA_S8_PiPS5_21rocsparse_index_base_SD_SD_b
		.amdhsa_group_segment_fixed_size 544
		.amdhsa_private_segment_fixed_size 0
		.amdhsa_kernarg_size 120
		.amdhsa_user_sgpr_count 6
		.amdhsa_user_sgpr_private_segment_buffer 1
		.amdhsa_user_sgpr_dispatch_ptr 0
		.amdhsa_user_sgpr_queue_ptr 0
		.amdhsa_user_sgpr_kernarg_segment_ptr 1
		.amdhsa_user_sgpr_dispatch_id 0
		.amdhsa_user_sgpr_flat_scratch_init 0
		.amdhsa_user_sgpr_private_segment_size 0
		.amdhsa_uses_dynamic_stack 0
		.amdhsa_system_sgpr_private_segment_wavefront_offset 0
		.amdhsa_system_sgpr_workgroup_id_x 1
		.amdhsa_system_sgpr_workgroup_id_y 0
		.amdhsa_system_sgpr_workgroup_id_z 0
		.amdhsa_system_sgpr_workgroup_info 0
		.amdhsa_system_vgpr_workitem_id 0
		.amdhsa_next_free_vgpr 27
		.amdhsa_next_free_sgpr 42
		.amdhsa_reserve_vcc 1
		.amdhsa_reserve_flat_scratch 0
		.amdhsa_float_round_mode_32 0
		.amdhsa_float_round_mode_16_64 0
		.amdhsa_float_denorm_mode_32 3
		.amdhsa_float_denorm_mode_16_64 3
		.amdhsa_dx10_clamp 1
		.amdhsa_ieee_mode 1
		.amdhsa_fp16_overflow 0
		.amdhsa_exception_fp_ieee_invalid_op 0
		.amdhsa_exception_fp_denorm_src 0
		.amdhsa_exception_fp_ieee_div_zero 0
		.amdhsa_exception_fp_ieee_overflow 0
		.amdhsa_exception_fp_ieee_underflow 0
		.amdhsa_exception_fp_ieee_inexact 0
		.amdhsa_exception_int_div_zero 0
	.end_amdhsa_kernel
	.section	.text._ZN9rocsparseL35bsrgeam_wf_per_row_multipass_kernelILj64ELj4E21rocsparse_complex_numIfEEEv20rocsparse_direction_iiiNS_24const_host_device_scalarIT1_EEPKiS8_PKS5_S6_S8_S8_SA_S8_PiPS5_21rocsparse_index_base_SD_SD_b,"axG",@progbits,_ZN9rocsparseL35bsrgeam_wf_per_row_multipass_kernelILj64ELj4E21rocsparse_complex_numIfEEEv20rocsparse_direction_iiiNS_24const_host_device_scalarIT1_EEPKiS8_PKS5_S6_S8_S8_SA_S8_PiPS5_21rocsparse_index_base_SD_SD_b,comdat
.Lfunc_end20:
	.size	_ZN9rocsparseL35bsrgeam_wf_per_row_multipass_kernelILj64ELj4E21rocsparse_complex_numIfEEEv20rocsparse_direction_iiiNS_24const_host_device_scalarIT1_EEPKiS8_PKS5_S6_S8_S8_SA_S8_PiPS5_21rocsparse_index_base_SD_SD_b, .Lfunc_end20-_ZN9rocsparseL35bsrgeam_wf_per_row_multipass_kernelILj64ELj4E21rocsparse_complex_numIfEEEv20rocsparse_direction_iiiNS_24const_host_device_scalarIT1_EEPKiS8_PKS5_S6_S8_S8_SA_S8_PiPS5_21rocsparse_index_base_SD_SD_b
                                        ; -- End function
	.set _ZN9rocsparseL35bsrgeam_wf_per_row_multipass_kernelILj64ELj4E21rocsparse_complex_numIfEEEv20rocsparse_direction_iiiNS_24const_host_device_scalarIT1_EEPKiS8_PKS5_S6_S8_S8_SA_S8_PiPS5_21rocsparse_index_base_SD_SD_b.num_vgpr, 27
	.set _ZN9rocsparseL35bsrgeam_wf_per_row_multipass_kernelILj64ELj4E21rocsparse_complex_numIfEEEv20rocsparse_direction_iiiNS_24const_host_device_scalarIT1_EEPKiS8_PKS5_S6_S8_S8_SA_S8_PiPS5_21rocsparse_index_base_SD_SD_b.num_agpr, 0
	.set _ZN9rocsparseL35bsrgeam_wf_per_row_multipass_kernelILj64ELj4E21rocsparse_complex_numIfEEEv20rocsparse_direction_iiiNS_24const_host_device_scalarIT1_EEPKiS8_PKS5_S6_S8_S8_SA_S8_PiPS5_21rocsparse_index_base_SD_SD_b.numbered_sgpr, 42
	.set _ZN9rocsparseL35bsrgeam_wf_per_row_multipass_kernelILj64ELj4E21rocsparse_complex_numIfEEEv20rocsparse_direction_iiiNS_24const_host_device_scalarIT1_EEPKiS8_PKS5_S6_S8_S8_SA_S8_PiPS5_21rocsparse_index_base_SD_SD_b.num_named_barrier, 0
	.set _ZN9rocsparseL35bsrgeam_wf_per_row_multipass_kernelILj64ELj4E21rocsparse_complex_numIfEEEv20rocsparse_direction_iiiNS_24const_host_device_scalarIT1_EEPKiS8_PKS5_S6_S8_S8_SA_S8_PiPS5_21rocsparse_index_base_SD_SD_b.private_seg_size, 0
	.set _ZN9rocsparseL35bsrgeam_wf_per_row_multipass_kernelILj64ELj4E21rocsparse_complex_numIfEEEv20rocsparse_direction_iiiNS_24const_host_device_scalarIT1_EEPKiS8_PKS5_S6_S8_S8_SA_S8_PiPS5_21rocsparse_index_base_SD_SD_b.uses_vcc, 1
	.set _ZN9rocsparseL35bsrgeam_wf_per_row_multipass_kernelILj64ELj4E21rocsparse_complex_numIfEEEv20rocsparse_direction_iiiNS_24const_host_device_scalarIT1_EEPKiS8_PKS5_S6_S8_S8_SA_S8_PiPS5_21rocsparse_index_base_SD_SD_b.uses_flat_scratch, 0
	.set _ZN9rocsparseL35bsrgeam_wf_per_row_multipass_kernelILj64ELj4E21rocsparse_complex_numIfEEEv20rocsparse_direction_iiiNS_24const_host_device_scalarIT1_EEPKiS8_PKS5_S6_S8_S8_SA_S8_PiPS5_21rocsparse_index_base_SD_SD_b.has_dyn_sized_stack, 0
	.set _ZN9rocsparseL35bsrgeam_wf_per_row_multipass_kernelILj64ELj4E21rocsparse_complex_numIfEEEv20rocsparse_direction_iiiNS_24const_host_device_scalarIT1_EEPKiS8_PKS5_S6_S8_S8_SA_S8_PiPS5_21rocsparse_index_base_SD_SD_b.has_recursion, 0
	.set _ZN9rocsparseL35bsrgeam_wf_per_row_multipass_kernelILj64ELj4E21rocsparse_complex_numIfEEEv20rocsparse_direction_iiiNS_24const_host_device_scalarIT1_EEPKiS8_PKS5_S6_S8_S8_SA_S8_PiPS5_21rocsparse_index_base_SD_SD_b.has_indirect_call, 0
	.section	.AMDGPU.csdata,"",@progbits
; Kernel info:
; codeLenInByte = 2148
; TotalNumSgprs: 46
; NumVgprs: 27
; ScratchSize: 0
; MemoryBound: 0
; FloatMode: 240
; IeeeMode: 1
; LDSByteSize: 544 bytes/workgroup (compile time only)
; SGPRBlocks: 5
; VGPRBlocks: 6
; NumSGPRsForWavesPerEU: 46
; NumVGPRsForWavesPerEU: 27
; Occupancy: 9
; WaveLimiterHint : 0
; COMPUTE_PGM_RSRC2:SCRATCH_EN: 0
; COMPUTE_PGM_RSRC2:USER_SGPR: 6
; COMPUTE_PGM_RSRC2:TRAP_HANDLER: 0
; COMPUTE_PGM_RSRC2:TGID_X_EN: 1
; COMPUTE_PGM_RSRC2:TGID_Y_EN: 0
; COMPUTE_PGM_RSRC2:TGID_Z_EN: 0
; COMPUTE_PGM_RSRC2:TIDIG_COMP_CNT: 0
	.section	.text._ZN9rocsparseL35bsrgeam_wf_per_row_multipass_kernelILj64ELj8E21rocsparse_complex_numIfEEEv20rocsparse_direction_iiiNS_24const_host_device_scalarIT1_EEPKiS8_PKS5_S6_S8_S8_SA_S8_PiPS5_21rocsparse_index_base_SD_SD_b,"axG",@progbits,_ZN9rocsparseL35bsrgeam_wf_per_row_multipass_kernelILj64ELj8E21rocsparse_complex_numIfEEEv20rocsparse_direction_iiiNS_24const_host_device_scalarIT1_EEPKiS8_PKS5_S6_S8_S8_SA_S8_PiPS5_21rocsparse_index_base_SD_SD_b,comdat
	.globl	_ZN9rocsparseL35bsrgeam_wf_per_row_multipass_kernelILj64ELj8E21rocsparse_complex_numIfEEEv20rocsparse_direction_iiiNS_24const_host_device_scalarIT1_EEPKiS8_PKS5_S6_S8_S8_SA_S8_PiPS5_21rocsparse_index_base_SD_SD_b ; -- Begin function _ZN9rocsparseL35bsrgeam_wf_per_row_multipass_kernelILj64ELj8E21rocsparse_complex_numIfEEEv20rocsparse_direction_iiiNS_24const_host_device_scalarIT1_EEPKiS8_PKS5_S6_S8_S8_SA_S8_PiPS5_21rocsparse_index_base_SD_SD_b
	.p2align	8
	.type	_ZN9rocsparseL35bsrgeam_wf_per_row_multipass_kernelILj64ELj8E21rocsparse_complex_numIfEEEv20rocsparse_direction_iiiNS_24const_host_device_scalarIT1_EEPKiS8_PKS5_S6_S8_S8_SA_S8_PiPS5_21rocsparse_index_base_SD_SD_b,@function
_ZN9rocsparseL35bsrgeam_wf_per_row_multipass_kernelILj64ELj8E21rocsparse_complex_numIfEEEv20rocsparse_direction_iiiNS_24const_host_device_scalarIT1_EEPKiS8_PKS5_S6_S8_S8_SA_S8_PiPS5_21rocsparse_index_base_SD_SD_b: ; @_ZN9rocsparseL35bsrgeam_wf_per_row_multipass_kernelILj64ELj8E21rocsparse_complex_numIfEEEv20rocsparse_direction_iiiNS_24const_host_device_scalarIT1_EEPKiS8_PKS5_S6_S8_S8_SA_S8_PiPS5_21rocsparse_index_base_SD_SD_b
; %bb.0:
	s_load_dwordx4 s[8:11], s[4:5], 0x68
	s_load_dwordx2 s[20:21], s[4:5], 0x10
	s_load_dwordx2 s[22:23], s[4:5], 0x30
	s_waitcnt lgkmcnt(0)
	s_bitcmp1_b32 s11, 0
	s_cselect_b64 s[0:1], -1, 0
	s_xor_b64 s[2:3], s[0:1], -1
	s_and_b64 vcc, exec, s[0:1]
	s_mov_b32 s11, s20
	s_cbranch_vccnz .LBB21_4
; %bb.1:
	s_load_dword s11, s[20:21], 0x0
	v_cndmask_b32_e64 v1, 0, 1, s[2:3]
	v_cmp_ne_u32_e64 s[0:1], 1, v1
	s_andn2_b64 vcc, exec, s[2:3]
	s_cbranch_vccz .LBB21_5
.LBB21_2:
	s_and_b64 vcc, exec, s[0:1]
	s_mov_b32 s20, s22
	s_cbranch_vccnz .LBB21_6
.LBB21_3:
	s_load_dword s20, s[22:23], 0x0
	s_load_dwordx2 s[18:19], s[4:5], 0x18
	s_and_b64 vcc, exec, s[0:1]
	s_cbranch_vccz .LBB21_7
	s_branch .LBB21_8
.LBB21_4:
	v_cndmask_b32_e64 v1, 0, 1, s[2:3]
	v_cmp_ne_u32_e64 s[0:1], 1, v1
	s_andn2_b64 vcc, exec, s[2:3]
	s_cbranch_vccnz .LBB21_2
.LBB21_5:
	s_load_dword s21, s[20:21], 0x4
	s_and_b64 vcc, exec, s[0:1]
	s_mov_b32 s20, s22
	s_cbranch_vccz .LBB21_3
.LBB21_6:
	s_load_dwordx2 s[18:19], s[4:5], 0x18
	s_and_b64 vcc, exec, s[0:1]
	s_cbranch_vccnz .LBB21_8
.LBB21_7:
	s_load_dword s23, s[22:23], 0x4
.LBB21_8:
	s_nop 0
	s_load_dwordx4 s[12:15], s[4:5], 0x0
	v_mov_b32_e32 v15, 0
	v_mov_b32_e32 v4, s6
	;; [unrolled: 1-line block ×3, first 2 shown]
	s_waitcnt lgkmcnt(0)
	s_cmp_ge_i32 s6, s13
	s_cselect_b64 s[0:1], -1, 0
	s_cmp_lt_i32 s6, s13
	s_cselect_b64 s[2:3], -1, 0
	s_and_saveexec_b64 s[16:17], s[2:3]
	s_cbranch_execz .LBB21_10
; %bb.9:
	v_ashrrev_i32_e64 v5, 31, s6
	v_lshlrev_b64 v[1:2], 2, v[4:5]
	v_mov_b32_e32 v3, s19
	v_add_co_u32_e32 v1, vcc, s18, v1
	v_addc_co_u32_e32 v2, vcc, v3, v2, vcc
	global_load_dword v1, v[1:2], off
	s_waitcnt vmcnt(0)
	v_subrev_u32_e32 v1, s8, v1
.LBB21_10:
	s_or_b64 exec, exec, s[16:17]
	s_load_dwordx2 s[16:17], s[4:5], 0x38
	s_and_saveexec_b64 s[24:25], s[2:3]
	s_cbranch_execz .LBB21_12
; %bb.11:
	v_ashrrev_i32_e64 v5, 31, s6
	v_lshlrev_b64 v[2:3], 2, v[4:5]
	v_mov_b32_e32 v5, s19
	v_add_co_u32_e32 v2, vcc, s18, v2
	v_addc_co_u32_e32 v3, vcc, v5, v3, vcc
	global_load_dword v2, v[2:3], off offset:4
	s_waitcnt vmcnt(0)
	v_subrev_u32_e32 v15, s8, v2
.LBB21_12:
	s_or_b64 exec, exec, s[24:25]
	v_mov_b32_e32 v16, 0
	v_mov_b32_e32 v3, 0
	s_and_saveexec_b64 s[18:19], s[2:3]
	s_cbranch_execz .LBB21_14
; %bb.13:
	v_ashrrev_i32_e64 v5, 31, s6
	v_lshlrev_b64 v[2:3], 2, v[4:5]
	s_waitcnt lgkmcnt(0)
	v_mov_b32_e32 v5, s17
	v_add_co_u32_e32 v2, vcc, s16, v2
	v_addc_co_u32_e32 v3, vcc, v5, v3, vcc
	global_load_dword v2, v[2:3], off
	s_waitcnt vmcnt(0)
	v_subrev_u32_e32 v3, s9, v2
.LBB21_14:
	s_or_b64 exec, exec, s[18:19]
	s_and_saveexec_b64 s[18:19], s[2:3]
	s_cbranch_execz .LBB21_16
; %bb.15:
	v_ashrrev_i32_e64 v5, 31, s6
	v_lshlrev_b64 v[5:6], 2, v[4:5]
	s_waitcnt lgkmcnt(0)
	v_mov_b32_e32 v2, s17
	v_add_co_u32_e32 v5, vcc, s16, v5
	v_addc_co_u32_e32 v6, vcc, v2, v6, vcc
	global_load_dword v2, v[5:6], off offset:4
	s_waitcnt vmcnt(0)
	v_subrev_u32_e32 v16, s9, v2
.LBB21_16:
	s_or_b64 exec, exec, s[18:19]
	s_load_dwordx2 s[24:25], s[4:5], 0x20
	v_mov_b32_e32 v5, 0
	s_waitcnt lgkmcnt(0)
	s_and_saveexec_b64 s[16:17], s[2:3]
	s_cbranch_execz .LBB21_18
; %bb.17:
	s_load_dwordx2 s[2:3], s[4:5], 0x50
	v_ashrrev_i32_e64 v5, 31, s6
	v_lshlrev_b64 v[4:5], 2, v[4:5]
	s_waitcnt lgkmcnt(0)
	v_mov_b32_e32 v2, s3
	v_add_co_u32_e32 v4, vcc, s2, v4
	v_addc_co_u32_e32 v5, vcc, v2, v5, vcc
	global_load_dword v2, v[4:5], off
	s_waitcnt vmcnt(0)
	v_subrev_u32_e32 v5, s10, v2
.LBB21_18:
	s_or_b64 exec, exec, s[16:17]
	s_load_dwordx2 s[6:7], s[4:5], 0x40
	v_cmp_lt_i32_e32 vcc, v1, v15
	v_mov_b32_e32 v2, s14
	s_and_saveexec_b64 s[2:3], vcc
	s_cbranch_execz .LBB21_20
; %bb.19:
	v_ashrrev_i32_e32 v2, 31, v1
	v_lshlrev_b64 v[6:7], 2, v[1:2]
	v_mov_b32_e32 v2, s25
	v_add_co_u32_e32 v6, vcc, s24, v6
	v_addc_co_u32_e32 v7, vcc, v2, v7, vcc
	global_load_dword v2, v[6:7], off
	s_waitcnt vmcnt(0)
	v_subrev_u32_e32 v2, s8, v2
.LBB21_20:
	s_or_b64 exec, exec, s[2:3]
	v_cmp_lt_i32_e32 vcc, v3, v16
	v_mov_b32_e32 v4, s14
	s_and_saveexec_b64 s[2:3], vcc
	s_cbranch_execz .LBB21_22
; %bb.21:
	v_ashrrev_i32_e32 v4, 31, v3
	v_lshlrev_b64 v[6:7], 2, v[3:4]
	s_waitcnt lgkmcnt(0)
	v_mov_b32_e32 v4, s7
	v_add_co_u32_e32 v6, vcc, s6, v6
	v_addc_co_u32_e32 v7, vcc, v4, v7, vcc
	global_load_dword v4, v[6:7], off
	s_waitcnt vmcnt(0)
	v_subrev_u32_e32 v4, s9, v4
.LBB21_22:
	s_or_b64 exec, exec, s[2:3]
	v_cndmask_b32_e64 v6, 0, 1, s[0:1]
	v_mov_b32_e32 v7, 0
	ds_write_b32 v7, v6 offset:512
	s_waitcnt lgkmcnt(0)
	; wave barrier
	ds_read_b32 v6, v7 offset:512
	s_waitcnt lgkmcnt(0)
	v_cmp_ne_u32_e32 vcc, 0, v6
	s_cbranch_vccz .LBB21_24
.LBB21_23:
	s_endpgm
.LBB21_24:
	s_load_dwordx4 s[16:19], s[4:5], 0x58
	s_load_dwordx2 s[26:27], s[4:5], 0x28
	s_load_dwordx2 s[28:29], s[4:5], 0x48
	v_and_b32_e32 v9, 7, v0
	v_lshrrev_b32_e32 v10, 3, v0
	v_min_i32_e32 v2, v4, v2
	v_max_i32_e32 v4, v10, v9
	v_lshlrev_b32_e32 v19, 3, v0
	v_cmp_gt_i32_e64 s[0:1], s15, v4
	s_cmp_lg_u32 s12, 0
	v_lshlrev_b32_e32 v4, 3, v9
	v_and_b32_e32 v0, 56, v0
	v_mov_b32_e32 v17, 0x200
	v_mov_b32_e32 v18, 0x204
	s_cselect_b64 s[4:5], -1, 0
	v_lshl_or_b32 v20, v10, 6, v4
	v_lshl_or_b32 v0, v9, 6, v0
	s_mul_i32 s22, s15, s15
	v_mov_b32_e32 v8, v7
	v_mov_b32_e32 v21, 1
	s_branch .LBB21_27
.LBB21_25:                              ;   in Loop: Header=BB21_27 Depth=1
	v_add_u32_e32 v4, v4, v9
	v_mad_u64_u32 v[11:12], s[12:13], v4, s15, v[10:11]
	ds_read_b64 v[13:14], v0
	v_mov_b32_e32 v4, s19
	v_ashrrev_i32_e32 v12, 31, v11
	v_lshlrev_b64 v[11:12], 3, v[11:12]
	v_add_co_u32_e32 v11, vcc, s18, v11
	v_addc_co_u32_e32 v12, vcc, v4, v12, vcc
	s_waitcnt lgkmcnt(0)
	global_store_dwordx2 v[11:12], v[13:14], off
.LBB21_26:                              ;   in Loop: Header=BB21_27 Depth=1
	s_or_b64 exec, exec, s[2:3]
	v_cmp_le_i32_e32 vcc, s14, v2
	v_cndmask_b32_e64 v4, 0, 1, vcc
	; wave barrier
	; wave barrier
	ds_write_b32 v17, v4
	s_waitcnt lgkmcnt(0)
	; wave barrier
	ds_read_b32 v4, v7 offset:512
	v_add_u32_e32 v5, 1, v5
	s_waitcnt lgkmcnt(0)
	v_cmp_eq_u32_e32 vcc, 0, v4
	s_cbranch_vccz .LBB21_23
.LBB21_27:                              ; =>This Loop Header: Depth=1
                                        ;     Child Loop BB21_30 Depth 2
                                        ;     Child Loop BB21_45 Depth 2
	v_mov_b32_e32 v6, v2
	v_cmp_lt_i32_e32 vcc, v1, v15
	v_mov_b32_e32 v2, s14
	ds_write_b32 v18, v7
	ds_write_b64 v19, v[7:8]
	s_waitcnt lgkmcnt(0)
	; wave barrier
	s_and_saveexec_b64 s[12:13], vcc
	s_cbranch_execz .LBB21_42
; %bb.28:                               ;   in Loop: Header=BB21_27 Depth=1
	v_mul_lo_u32 v2, s15, v1
	s_mov_b64 s[30:31], 0
	v_add_u32_e32 v4, v9, v2
	v_add_u32_e32 v2, v10, v2
	v_mad_u64_u32 v[11:12], s[2:3], s15, v4, v[10:11]
	v_mad_u64_u32 v[12:13], s[2:3], s15, v2, v[9:10]
	v_ashrrev_i32_e32 v2, 31, v1
	v_lshlrev_b64 v[13:14], 2, v[1:2]
	v_mov_b32_e32 v2, s25
	v_add_co_u32_e32 v13, vcc, s24, v13
	v_addc_co_u32_e32 v14, vcc, v2, v14, vcc
	v_mov_b32_e32 v4, 0
	v_mov_b32_e32 v2, s14
	s_branch .LBB21_30
.LBB21_29:                              ;   in Loop: Header=BB21_30 Depth=2
	s_or_b64 exec, exec, s[36:37]
	s_and_b64 s[2:3], exec, s[34:35]
	v_mov_b32_e32 v23, v1
	s_or_b64 s[30:31], s[2:3], s[30:31]
	v_mov_b32_e32 v1, v22
	s_andn2_b64 exec, exec, s[30:31]
	s_cbranch_execz .LBB21_41
.LBB21_30:                              ;   Parent Loop BB21_27 Depth=1
                                        ; =>  This Inner Loop Header: Depth=2
	global_load_dword v22, v[13:14], off
	s_waitcnt vmcnt(0)
	v_subrev_u32_e32 v22, s8, v22
	v_cmp_le_i32_e64 s[2:3], v22, v6
	s_and_saveexec_b64 s[34:35], s[2:3]
	s_xor_b64 s[34:35], exec, s[34:35]
	s_cbranch_execz .LBB21_36
; %bb.31:                               ;   in Loop: Header=BB21_30 Depth=2
	ds_write_b32 v18, v21
	s_and_saveexec_b64 s[36:37], s[0:1]
	s_cbranch_execz .LBB21_35
; %bb.32:                               ;   in Loop: Header=BB21_30 Depth=2
	s_and_b64 vcc, exec, s[4:5]
	s_cbranch_vccz .LBB21_40
; %bb.33:                               ;   in Loop: Header=BB21_30 Depth=2
	v_add_u32_e32 v22, v12, v4
	v_ashrrev_i32_e32 v23, 31, v22
	v_lshlrev_b64 v[22:23], 3, v[22:23]
	v_mov_b32_e32 v24, s27
	v_add_co_u32_e32 v22, vcc, s26, v22
	v_addc_co_u32_e32 v23, vcc, v24, v23, vcc
	global_load_dwordx2 v[22:23], v[22:23], off
	s_waitcnt vmcnt(0)
	v_mul_f32_e64 v24, v23, -s21
	v_mul_f32_e32 v25, s11, v23
	v_fmac_f32_e32 v24, s11, v22
	v_fmac_f32_e32 v25, s21, v22
	ds_write_b64 v20, v[24:25]
	s_cbranch_execnz .LBB21_35
.LBB21_34:                              ;   in Loop: Header=BB21_30 Depth=2
	v_add_u32_e32 v22, v11, v4
	v_ashrrev_i32_e32 v23, 31, v22
	v_lshlrev_b64 v[22:23], 3, v[22:23]
	v_mov_b32_e32 v24, s27
	v_add_co_u32_e32 v22, vcc, s26, v22
	v_addc_co_u32_e32 v23, vcc, v24, v23, vcc
	global_load_dwordx2 v[22:23], v[22:23], off
	s_waitcnt vmcnt(0)
	v_mul_f32_e64 v24, v23, -s21
	v_mul_f32_e32 v25, s11, v23
	v_fmac_f32_e32 v24, s11, v22
	v_fmac_f32_e32 v25, s21, v22
	ds_write_b64 v0, v[24:25]
.LBB21_35:                              ;   in Loop: Header=BB21_30 Depth=2
	s_or_b64 exec, exec, s[36:37]
                                        ; implicit-def: $vgpr22
	s_andn2_saveexec_b64 s[34:35], s[34:35]
	s_branch .LBB21_37
.LBB21_36:                              ;   in Loop: Header=BB21_30 Depth=2
	s_andn2_saveexec_b64 s[34:35], s[34:35]
.LBB21_37:                              ;   in Loop: Header=BB21_30 Depth=2
	v_min_i32_e32 v2, v22, v2
; %bb.38:                               ;   in Loop: Header=BB21_30 Depth=2
	s_or_b64 exec, exec, s[34:35]
	s_mov_b64 s[34:35], -1
                                        ; implicit-def: $vgpr22
	s_and_saveexec_b64 s[36:37], s[2:3]
	s_cbranch_execz .LBB21_29
; %bb.39:                               ;   in Loop: Header=BB21_30 Depth=2
	v_add_co_u32_e32 v13, vcc, 4, v13
	v_add_u32_e32 v22, 1, v1
	v_addc_co_u32_e32 v14, vcc, 0, v14, vcc
	v_cmp_ge_i32_e32 vcc, v22, v15
	v_add_u32_e32 v4, s22, v4
	s_orn2_b64 s[34:35], vcc, exec
	v_mov_b32_e32 v1, v15
	s_branch .LBB21_29
.LBB21_40:                              ;   in Loop: Header=BB21_30 Depth=2
	s_branch .LBB21_34
.LBB21_41:                              ;   in Loop: Header=BB21_27 Depth=1
	s_or_b64 exec, exec, s[30:31]
	v_mov_b32_e32 v1, v23
.LBB21_42:                              ;   in Loop: Header=BB21_27 Depth=1
	s_or_b64 exec, exec, s[12:13]
	v_cmp_lt_i32_e32 vcc, v3, v16
	s_waitcnt lgkmcnt(0)
	; wave barrier
	s_and_saveexec_b64 s[12:13], vcc
	s_cbranch_execz .LBB21_57
; %bb.43:                               ;   in Loop: Header=BB21_27 Depth=1
	v_mul_lo_u32 v4, s15, v3
	s_mov_b64 s[30:31], 0
	v_add_u32_e32 v11, v9, v4
	v_add_u32_e32 v4, v10, v4
	v_mad_u64_u32 v[11:12], s[2:3], s15, v11, v[10:11]
	v_mad_u64_u32 v[12:13], s[2:3], s15, v4, v[9:10]
	v_ashrrev_i32_e32 v4, 31, v3
	v_lshlrev_b64 v[13:14], 2, v[3:4]
	v_mov_b32_e32 v4, s7
	v_add_co_u32_e32 v13, vcc, s6, v13
	v_addc_co_u32_e32 v14, vcc, v4, v14, vcc
	v_mov_b32_e32 v4, 0
	s_branch .LBB21_45
.LBB21_44:                              ;   in Loop: Header=BB21_45 Depth=2
	s_or_b64 exec, exec, s[36:37]
	s_and_b64 s[2:3], exec, s[34:35]
	v_mov_b32_e32 v23, v3
	s_or_b64 s[30:31], s[2:3], s[30:31]
	v_mov_b32_e32 v3, v22
	s_andn2_b64 exec, exec, s[30:31]
	s_cbranch_execz .LBB21_56
.LBB21_45:                              ;   Parent Loop BB21_27 Depth=1
                                        ; =>  This Inner Loop Header: Depth=2
	global_load_dword v22, v[13:14], off
	s_waitcnt vmcnt(0)
	v_subrev_u32_e32 v22, s9, v22
	v_cmp_le_i32_e64 s[2:3], v22, v6
	s_and_saveexec_b64 s[34:35], s[2:3]
	s_xor_b64 s[34:35], exec, s[34:35]
	s_cbranch_execz .LBB21_51
; %bb.46:                               ;   in Loop: Header=BB21_45 Depth=2
	ds_write_b32 v18, v21
	s_and_saveexec_b64 s[36:37], s[0:1]
	s_cbranch_execz .LBB21_50
; %bb.47:                               ;   in Loop: Header=BB21_45 Depth=2
	s_and_b64 vcc, exec, s[4:5]
	s_cbranch_vccz .LBB21_55
; %bb.48:                               ;   in Loop: Header=BB21_45 Depth=2
	v_add_u32_e32 v22, v12, v4
	v_ashrrev_i32_e32 v23, 31, v22
	v_lshlrev_b64 v[22:23], 3, v[22:23]
	v_mov_b32_e32 v24, s29
	v_add_co_u32_e32 v22, vcc, s28, v22
	v_addc_co_u32_e32 v23, vcc, v24, v23, vcc
	global_load_dwordx2 v[22:23], v[22:23], off
	ds_read_b64 v[24:25], v20
	s_waitcnt vmcnt(0) lgkmcnt(0)
	v_fma_f32 v24, s20, v22, v24
	v_fmac_f32_e32 v25, s23, v22
	v_fma_f32 v24, -s23, v23, v24
	v_fmac_f32_e32 v25, s20, v23
	ds_write_b64 v20, v[24:25]
	s_cbranch_execnz .LBB21_50
.LBB21_49:                              ;   in Loop: Header=BB21_45 Depth=2
	v_add_u32_e32 v22, v11, v4
	v_ashrrev_i32_e32 v23, 31, v22
	v_lshlrev_b64 v[22:23], 3, v[22:23]
	v_mov_b32_e32 v24, s29
	v_add_co_u32_e32 v22, vcc, s28, v22
	v_addc_co_u32_e32 v23, vcc, v24, v23, vcc
	global_load_dwordx2 v[22:23], v[22:23], off
	ds_read_b64 v[24:25], v0
	s_waitcnt vmcnt(0) lgkmcnt(0)
	v_fma_f32 v24, s20, v22, v24
	v_fmac_f32_e32 v25, s23, v22
	v_fma_f32 v24, -s23, v23, v24
	v_fmac_f32_e32 v25, s20, v23
	ds_write_b64 v0, v[24:25]
.LBB21_50:                              ;   in Loop: Header=BB21_45 Depth=2
	s_or_b64 exec, exec, s[36:37]
                                        ; implicit-def: $vgpr22
	s_andn2_saveexec_b64 s[34:35], s[34:35]
	s_branch .LBB21_52
.LBB21_51:                              ;   in Loop: Header=BB21_45 Depth=2
	s_andn2_saveexec_b64 s[34:35], s[34:35]
.LBB21_52:                              ;   in Loop: Header=BB21_45 Depth=2
	v_min_i32_e32 v2, v22, v2
; %bb.53:                               ;   in Loop: Header=BB21_45 Depth=2
	s_or_b64 exec, exec, s[34:35]
	s_mov_b64 s[34:35], -1
                                        ; implicit-def: $vgpr22
	s_and_saveexec_b64 s[36:37], s[2:3]
	s_cbranch_execz .LBB21_44
; %bb.54:                               ;   in Loop: Header=BB21_45 Depth=2
	v_add_co_u32_e32 v13, vcc, 4, v13
	v_add_u32_e32 v22, 1, v3
	v_addc_co_u32_e32 v14, vcc, 0, v14, vcc
	v_cmp_ge_i32_e32 vcc, v22, v16
	v_add_u32_e32 v4, s22, v4
	s_orn2_b64 s[34:35], vcc, exec
	v_mov_b32_e32 v3, v16
	s_branch .LBB21_44
.LBB21_55:                              ;   in Loop: Header=BB21_45 Depth=2
	s_branch .LBB21_49
.LBB21_56:                              ;   in Loop: Header=BB21_27 Depth=1
	s_or_b64 exec, exec, s[30:31]
	v_mov_b32_e32 v3, v23
.LBB21_57:                              ;   in Loop: Header=BB21_27 Depth=1
	s_or_b64 exec, exec, s[12:13]
	s_waitcnt lgkmcnt(0)
	; wave barrier
	ds_read_b32 v4, v18
	s_waitcnt lgkmcnt(0)
	v_cmp_ne_u32_e32 vcc, 0, v4
	s_and_saveexec_b64 s[2:3], vcc
	s_cbranch_execz .LBB21_26
; %bb.58:                               ;   in Loop: Header=BB21_27 Depth=1
	v_add_u32_e32 v4, s10, v6
	v_ashrrev_i32_e32 v6, 31, v5
	v_lshlrev_b64 v[11:12], 2, v[5:6]
	v_mov_b32_e32 v6, s17
	v_add_co_u32_e32 v11, vcc, s16, v11
	v_addc_co_u32_e32 v12, vcc, v6, v12, vcc
	global_store_dword v[11:12], v4, off
	s_and_b64 exec, exec, s[0:1]
	s_cbranch_execz .LBB21_26
; %bb.59:                               ;   in Loop: Header=BB21_27 Depth=1
	v_mul_lo_u32 v4, v5, s15
	s_and_b64 vcc, exec, s[4:5]
	s_cbranch_vccz .LBB21_61
; %bb.60:                               ;   in Loop: Header=BB21_27 Depth=1
	v_add_u32_e32 v6, v4, v10
	v_mad_u64_u32 v[11:12], s[12:13], v6, s15, v[9:10]
	ds_read_b64 v[13:14], v20
	v_mov_b32_e32 v6, s19
	v_ashrrev_i32_e32 v12, 31, v11
	v_lshlrev_b64 v[11:12], 3, v[11:12]
	v_add_co_u32_e32 v11, vcc, s18, v11
	v_addc_co_u32_e32 v12, vcc, v6, v12, vcc
	s_waitcnt lgkmcnt(0)
	global_store_dwordx2 v[11:12], v[13:14], off
	s_cbranch_execnz .LBB21_26
	s_branch .LBB21_25
.LBB21_61:                              ;   in Loop: Header=BB21_27 Depth=1
	s_branch .LBB21_25
	.section	.rodata,"a",@progbits
	.p2align	6, 0x0
	.amdhsa_kernel _ZN9rocsparseL35bsrgeam_wf_per_row_multipass_kernelILj64ELj8E21rocsparse_complex_numIfEEEv20rocsparse_direction_iiiNS_24const_host_device_scalarIT1_EEPKiS8_PKS5_S6_S8_S8_SA_S8_PiPS5_21rocsparse_index_base_SD_SD_b
		.amdhsa_group_segment_fixed_size 520
		.amdhsa_private_segment_fixed_size 0
		.amdhsa_kernarg_size 120
		.amdhsa_user_sgpr_count 6
		.amdhsa_user_sgpr_private_segment_buffer 1
		.amdhsa_user_sgpr_dispatch_ptr 0
		.amdhsa_user_sgpr_queue_ptr 0
		.amdhsa_user_sgpr_kernarg_segment_ptr 1
		.amdhsa_user_sgpr_dispatch_id 0
		.amdhsa_user_sgpr_flat_scratch_init 0
		.amdhsa_user_sgpr_private_segment_size 0
		.amdhsa_uses_dynamic_stack 0
		.amdhsa_system_sgpr_private_segment_wavefront_offset 0
		.amdhsa_system_sgpr_workgroup_id_x 1
		.amdhsa_system_sgpr_workgroup_id_y 0
		.amdhsa_system_sgpr_workgroup_id_z 0
		.amdhsa_system_sgpr_workgroup_info 0
		.amdhsa_system_vgpr_workitem_id 0
		.amdhsa_next_free_vgpr 26
		.amdhsa_next_free_sgpr 38
		.amdhsa_reserve_vcc 1
		.amdhsa_reserve_flat_scratch 0
		.amdhsa_float_round_mode_32 0
		.amdhsa_float_round_mode_16_64 0
		.amdhsa_float_denorm_mode_32 3
		.amdhsa_float_denorm_mode_16_64 3
		.amdhsa_dx10_clamp 1
		.amdhsa_ieee_mode 1
		.amdhsa_fp16_overflow 0
		.amdhsa_exception_fp_ieee_invalid_op 0
		.amdhsa_exception_fp_denorm_src 0
		.amdhsa_exception_fp_ieee_div_zero 0
		.amdhsa_exception_fp_ieee_overflow 0
		.amdhsa_exception_fp_ieee_underflow 0
		.amdhsa_exception_fp_ieee_inexact 0
		.amdhsa_exception_int_div_zero 0
	.end_amdhsa_kernel
	.section	.text._ZN9rocsparseL35bsrgeam_wf_per_row_multipass_kernelILj64ELj8E21rocsparse_complex_numIfEEEv20rocsparse_direction_iiiNS_24const_host_device_scalarIT1_EEPKiS8_PKS5_S6_S8_S8_SA_S8_PiPS5_21rocsparse_index_base_SD_SD_b,"axG",@progbits,_ZN9rocsparseL35bsrgeam_wf_per_row_multipass_kernelILj64ELj8E21rocsparse_complex_numIfEEEv20rocsparse_direction_iiiNS_24const_host_device_scalarIT1_EEPKiS8_PKS5_S6_S8_S8_SA_S8_PiPS5_21rocsparse_index_base_SD_SD_b,comdat
.Lfunc_end21:
	.size	_ZN9rocsparseL35bsrgeam_wf_per_row_multipass_kernelILj64ELj8E21rocsparse_complex_numIfEEEv20rocsparse_direction_iiiNS_24const_host_device_scalarIT1_EEPKiS8_PKS5_S6_S8_S8_SA_S8_PiPS5_21rocsparse_index_base_SD_SD_b, .Lfunc_end21-_ZN9rocsparseL35bsrgeam_wf_per_row_multipass_kernelILj64ELj8E21rocsparse_complex_numIfEEEv20rocsparse_direction_iiiNS_24const_host_device_scalarIT1_EEPKiS8_PKS5_S6_S8_S8_SA_S8_PiPS5_21rocsparse_index_base_SD_SD_b
                                        ; -- End function
	.set _ZN9rocsparseL35bsrgeam_wf_per_row_multipass_kernelILj64ELj8E21rocsparse_complex_numIfEEEv20rocsparse_direction_iiiNS_24const_host_device_scalarIT1_EEPKiS8_PKS5_S6_S8_S8_SA_S8_PiPS5_21rocsparse_index_base_SD_SD_b.num_vgpr, 26
	.set _ZN9rocsparseL35bsrgeam_wf_per_row_multipass_kernelILj64ELj8E21rocsparse_complex_numIfEEEv20rocsparse_direction_iiiNS_24const_host_device_scalarIT1_EEPKiS8_PKS5_S6_S8_S8_SA_S8_PiPS5_21rocsparse_index_base_SD_SD_b.num_agpr, 0
	.set _ZN9rocsparseL35bsrgeam_wf_per_row_multipass_kernelILj64ELj8E21rocsparse_complex_numIfEEEv20rocsparse_direction_iiiNS_24const_host_device_scalarIT1_EEPKiS8_PKS5_S6_S8_S8_SA_S8_PiPS5_21rocsparse_index_base_SD_SD_b.numbered_sgpr, 38
	.set _ZN9rocsparseL35bsrgeam_wf_per_row_multipass_kernelILj64ELj8E21rocsparse_complex_numIfEEEv20rocsparse_direction_iiiNS_24const_host_device_scalarIT1_EEPKiS8_PKS5_S6_S8_S8_SA_S8_PiPS5_21rocsparse_index_base_SD_SD_b.num_named_barrier, 0
	.set _ZN9rocsparseL35bsrgeam_wf_per_row_multipass_kernelILj64ELj8E21rocsparse_complex_numIfEEEv20rocsparse_direction_iiiNS_24const_host_device_scalarIT1_EEPKiS8_PKS5_S6_S8_S8_SA_S8_PiPS5_21rocsparse_index_base_SD_SD_b.private_seg_size, 0
	.set _ZN9rocsparseL35bsrgeam_wf_per_row_multipass_kernelILj64ELj8E21rocsparse_complex_numIfEEEv20rocsparse_direction_iiiNS_24const_host_device_scalarIT1_EEPKiS8_PKS5_S6_S8_S8_SA_S8_PiPS5_21rocsparse_index_base_SD_SD_b.uses_vcc, 1
	.set _ZN9rocsparseL35bsrgeam_wf_per_row_multipass_kernelILj64ELj8E21rocsparse_complex_numIfEEEv20rocsparse_direction_iiiNS_24const_host_device_scalarIT1_EEPKiS8_PKS5_S6_S8_S8_SA_S8_PiPS5_21rocsparse_index_base_SD_SD_b.uses_flat_scratch, 0
	.set _ZN9rocsparseL35bsrgeam_wf_per_row_multipass_kernelILj64ELj8E21rocsparse_complex_numIfEEEv20rocsparse_direction_iiiNS_24const_host_device_scalarIT1_EEPKiS8_PKS5_S6_S8_S8_SA_S8_PiPS5_21rocsparse_index_base_SD_SD_b.has_dyn_sized_stack, 0
	.set _ZN9rocsparseL35bsrgeam_wf_per_row_multipass_kernelILj64ELj8E21rocsparse_complex_numIfEEEv20rocsparse_direction_iiiNS_24const_host_device_scalarIT1_EEPKiS8_PKS5_S6_S8_S8_SA_S8_PiPS5_21rocsparse_index_base_SD_SD_b.has_recursion, 0
	.set _ZN9rocsparseL35bsrgeam_wf_per_row_multipass_kernelILj64ELj8E21rocsparse_complex_numIfEEEv20rocsparse_direction_iiiNS_24const_host_device_scalarIT1_EEPKiS8_PKS5_S6_S8_S8_SA_S8_PiPS5_21rocsparse_index_base_SD_SD_b.has_indirect_call, 0
	.section	.AMDGPU.csdata,"",@progbits
; Kernel info:
; codeLenInByte = 1972
; TotalNumSgprs: 42
; NumVgprs: 26
; ScratchSize: 0
; MemoryBound: 0
; FloatMode: 240
; IeeeMode: 1
; LDSByteSize: 520 bytes/workgroup (compile time only)
; SGPRBlocks: 5
; VGPRBlocks: 6
; NumSGPRsForWavesPerEU: 42
; NumVGPRsForWavesPerEU: 26
; Occupancy: 9
; WaveLimiterHint : 0
; COMPUTE_PGM_RSRC2:SCRATCH_EN: 0
; COMPUTE_PGM_RSRC2:USER_SGPR: 6
; COMPUTE_PGM_RSRC2:TRAP_HANDLER: 0
; COMPUTE_PGM_RSRC2:TGID_X_EN: 1
; COMPUTE_PGM_RSRC2:TGID_Y_EN: 0
; COMPUTE_PGM_RSRC2:TGID_Z_EN: 0
; COMPUTE_PGM_RSRC2:TIDIG_COMP_CNT: 0
	.section	.text._ZN9rocsparseL39bsrgeam_block_per_row_multipass_kernel2ILj256ELj16E21rocsparse_complex_numIfEEEv20rocsparse_direction_iiiNS_24const_host_device_scalarIT1_EEPKiS8_PKS5_S6_S8_S8_SA_S8_PiPS5_21rocsparse_index_base_SD_SD_b,"axG",@progbits,_ZN9rocsparseL39bsrgeam_block_per_row_multipass_kernel2ILj256ELj16E21rocsparse_complex_numIfEEEv20rocsparse_direction_iiiNS_24const_host_device_scalarIT1_EEPKiS8_PKS5_S6_S8_S8_SA_S8_PiPS5_21rocsparse_index_base_SD_SD_b,comdat
	.globl	_ZN9rocsparseL39bsrgeam_block_per_row_multipass_kernel2ILj256ELj16E21rocsparse_complex_numIfEEEv20rocsparse_direction_iiiNS_24const_host_device_scalarIT1_EEPKiS8_PKS5_S6_S8_S8_SA_S8_PiPS5_21rocsparse_index_base_SD_SD_b ; -- Begin function _ZN9rocsparseL39bsrgeam_block_per_row_multipass_kernel2ILj256ELj16E21rocsparse_complex_numIfEEEv20rocsparse_direction_iiiNS_24const_host_device_scalarIT1_EEPKiS8_PKS5_S6_S8_S8_SA_S8_PiPS5_21rocsparse_index_base_SD_SD_b
	.p2align	8
	.type	_ZN9rocsparseL39bsrgeam_block_per_row_multipass_kernel2ILj256ELj16E21rocsparse_complex_numIfEEEv20rocsparse_direction_iiiNS_24const_host_device_scalarIT1_EEPKiS8_PKS5_S6_S8_S8_SA_S8_PiPS5_21rocsparse_index_base_SD_SD_b,@function
_ZN9rocsparseL39bsrgeam_block_per_row_multipass_kernel2ILj256ELj16E21rocsparse_complex_numIfEEEv20rocsparse_direction_iiiNS_24const_host_device_scalarIT1_EEPKiS8_PKS5_S6_S8_S8_SA_S8_PiPS5_21rocsparse_index_base_SD_SD_b: ; @_ZN9rocsparseL39bsrgeam_block_per_row_multipass_kernel2ILj256ELj16E21rocsparse_complex_numIfEEEv20rocsparse_direction_iiiNS_24const_host_device_scalarIT1_EEPKiS8_PKS5_S6_S8_S8_SA_S8_PiPS5_21rocsparse_index_base_SD_SD_b
; %bb.0:
	s_load_dwordx4 s[8:11], s[4:5], 0x68
	s_load_dwordx2 s[2:3], s[4:5], 0x10
	s_load_dwordx2 s[16:17], s[4:5], 0x30
	s_waitcnt lgkmcnt(0)
	s_bitcmp1_b32 s11, 0
	s_cselect_b64 s[0:1], -1, 0
	s_xor_b64 s[12:13], s[0:1], -1
	s_and_b64 vcc, exec, s[0:1]
	s_mov_b32 s11, s2
	s_cbranch_vccnz .LBB22_2
; %bb.1:
	s_load_dword s11, s[2:3], 0x0
.LBB22_2:
	v_cndmask_b32_e64 v1, 0, 1, s[12:13]
	v_cmp_ne_u32_e64 s[0:1], 1, v1
	s_andn2_b64 vcc, exec, s[12:13]
	s_cbranch_vccnz .LBB22_4
; %bb.3:
	s_load_dword s3, s[2:3], 0x4
.LBB22_4:
	s_nop 0
	s_load_dwordx2 s[12:13], s[4:5], 0x50
	s_load_dwordx2 s[20:21], s[4:5], 0x18
	;; [unrolled: 1-line block ×3, first 2 shown]
	s_and_b64 vcc, exec, s[0:1]
	s_mov_b32 s2, s16
	s_cbranch_vccnz .LBB22_6
; %bb.5:
	s_load_dword s2, s[16:17], 0x0
.LBB22_6:
	s_load_dwordx2 s[18:19], s[4:5], 0x20
	s_and_b64 vcc, exec, s[0:1]
	s_cbranch_vccnz .LBB22_8
; %bb.7:
	s_load_dword s17, s[16:17], 0x4
.LBB22_8:
	s_ashr_i32 s7, s6, 31
	s_lshl_b64 s[24:25], s[6:7], 2
	s_waitcnt lgkmcnt(0)
	s_add_u32 s22, s20, s24
	s_addc_u32 s23, s21, s25
	s_load_dwordx2 s[0:1], s[22:23], 0x0
	s_load_dwordx2 s[6:7], s[4:5], 0x40
	;; [unrolled: 1-line block ×3, first 2 shown]
	s_waitcnt lgkmcnt(0)
	s_sub_i32 s22, s0, s8
	s_add_u32 s14, s14, s24
	s_addc_u32 s15, s15, s25
	s_load_dwordx2 s[30:31], s[14:15], 0x0
	s_add_u32 s28, s12, s24
	s_addc_u32 s29, s13, s25
	s_cmp_ge_i32 s0, s1
	s_mov_b32 s0, s20
	s_cbranch_scc1 .LBB22_10
; %bb.9:
	s_ashr_i32 s23, s22, 31
	s_lshl_b64 s[12:13], s[22:23], 2
	s_add_u32 s12, s18, s12
	s_addc_u32 s13, s19, s13
	s_load_dword s0, s[12:13], 0x0
	s_waitcnt lgkmcnt(0)
	s_sub_i32 s0, s0, s8
.LBB22_10:
	s_load_dwordx4 s[12:15], s[4:5], 0x58
	s_load_dwordx2 s[24:25], s[4:5], 0x28
	s_load_dwordx2 s[26:27], s[4:5], 0x48
	s_load_dword s23, s[28:29], 0x0
	s_waitcnt lgkmcnt(0)
	s_sub_i32 s28, s30, s9
	s_cmp_ge_i32 s30, s31
	s_mov_b32 s29, s20
	s_cbranch_scc1 .LBB22_12
; %bb.11:
	s_ashr_i32 s29, s28, 31
	s_lshl_b64 s[34:35], s[28:29], 2
	s_add_u32 s34, s6, s34
	s_addc_u32 s35, s7, s35
	s_load_dword s16, s[34:35], 0x0
	s_waitcnt lgkmcnt(0)
	s_sub_i32 s29, s16, s9
.LBB22_12:
	s_load_dword s4, s[4:5], 0x0
	v_and_b32_e32 v1, 15, v0
	v_lshrrev_b32_e32 v2, 4, v0
	s_sub_i32 s16, s1, s8
	s_sub_i32 s33, s31, s9
	s_min_i32 s31, s29, s0
	v_cmp_gt_u32_e32 vcc, s21, v1
	v_cmp_gt_i32_e64 s[0:1], s21, v2
	s_sub_i32 s30, s23, s10
	s_and_b64 s[0:1], vcc, s[0:1]
	v_lshlrev_b32_e32 v3, 3, v2
	s_waitcnt lgkmcnt(0)
	s_cmp_lg_u32 s4, 0
	v_lshlrev_b32_e32 v7, 7, v1
	v_mov_b32_e32 v4, 0
	v_lshlrev_b32_e32 v0, 3, v0
	s_cselect_b64 s[4:5], -1, 0
	s_mul_i32 s42, s21, s21
	v_mov_b32_e32 v5, v4
	v_mov_b32_e32 v6, v4
	;; [unrolled: 1-line block ×3, first 2 shown]
	v_add_u32_e32 v11, v3, v7
	s_branch .LBB22_15
.LBB22_13:                              ;   in Loop: Header=BB22_15 Depth=1
	s_or_b64 exec, exec, s[34:35]
.LBB22_14:                              ;   in Loop: Header=BB22_15 Depth=1
	s_waitcnt vmcnt(0)
	s_barrier
	ds_read_b32 v3, v4 offset:2048
	s_mov_b32 s31, s29
	s_waitcnt lgkmcnt(0)
	s_barrier
	v_readfirstlane_b32 s23, v3
	s_add_i32 s30, s23, s30
	s_cmp_lt_i32 s29, s20
	s_cbranch_scc0 .LBB22_53
.LBB22_15:                              ; =>This Loop Header: Depth=1
                                        ;     Child Loop BB22_17 Depth 2
                                        ;     Child Loop BB22_33 Depth 2
	s_cmp_ge_i32 s22, s16
	ds_write_b32 v4, v4 offset:2048
	ds_write_b64 v0, v[5:6]
	s_waitcnt lgkmcnt(0)
	s_barrier
	s_cbranch_scc1 .LBB22_30
; %bb.16:                               ;   in Loop: Header=BB22_15 Depth=1
	s_mul_i32 s23, s21, s22
	v_add_u32_e32 v3, s23, v2
	v_mad_u64_u32 v[7:8], s[34:35], s21, v3, v[1:2]
	v_add_u32_e32 v3, s23, v1
	v_mad_u64_u32 v[8:9], s[34:35], s21, v3, v[2:3]
	s_ashr_i32 s23, s22, 31
	s_lshl_b64 s[34:35], s[22:23], 2
	s_add_u32 s34, s18, s34
	s_addc_u32 s35, s19, s35
	s_mov_b32 s29, 0
	s_mov_b32 s43, s20
.LBB22_17:                              ;   Parent Loop BB22_15 Depth=1
                                        ; =>  This Inner Loop Header: Depth=2
	s_load_dword s23, s[34:35], 0x0
	s_mov_b64 s[38:39], -1
	s_waitcnt lgkmcnt(0)
	s_sub_i32 s40, s23, s8
	s_cmp_eq_u32 s40, s31
	s_cselect_b64 s[36:37], -1, 0
	s_cmp_lg_u32 s40, s31
                                        ; implicit-def: $sgpr23
	s_cbranch_scc1 .LBB22_21
; %bb.18:                               ;   in Loop: Header=BB22_17 Depth=2
	s_andn2_b64 vcc, exec, s[38:39]
	s_cbranch_vccz .LBB22_22
.LBB22_19:                              ;   in Loop: Header=BB22_17 Depth=2
	s_andn2_b64 vcc, exec, s[36:37]
	s_mov_b64 s[36:37], -1
	s_cbranch_vccnz .LBB22_27
.LBB22_20:                              ;   in Loop: Header=BB22_17 Depth=2
	s_add_i32 s22, s22, 1
	s_add_i32 s29, s29, s42
	s_add_u32 s34, s34, 4
	s_addc_u32 s35, s35, 0
	s_cmp_ge_i32 s22, s16
	s_cselect_b64 s[36:37], -1, 0
	s_andn2_b64 vcc, exec, s[36:37]
	s_cbranch_vccnz .LBB22_28
	s_branch .LBB22_31
.LBB22_21:                              ;   in Loop: Header=BB22_17 Depth=2
	s_min_i32 s23, s40, s43
	s_cbranch_execnz .LBB22_19
.LBB22_22:                              ;   in Loop: Header=BB22_17 Depth=2
	ds_write_b32 v4, v10 offset:2048
	s_and_saveexec_b64 s[38:39], s[0:1]
	s_cbranch_execz .LBB22_26
; %bb.23:                               ;   in Loop: Header=BB22_17 Depth=2
	s_and_b64 vcc, exec, s[4:5]
	s_cbranch_vccz .LBB22_29
; %bb.24:                               ;   in Loop: Header=BB22_17 Depth=2
	v_add_u32_e32 v3, s29, v8
	v_lshlrev_b64 v[12:13], 3, v[3:4]
	v_mov_b32_e32 v3, s25
	v_add_co_u32_e32 v12, vcc, s24, v12
	v_addc_co_u32_e32 v13, vcc, v3, v13, vcc
	global_load_dwordx2 v[12:13], v[12:13], off
	s_waitcnt vmcnt(0)
	v_mul_f32_e64 v14, v13, -s3
	v_mul_f32_e32 v15, s11, v13
	v_fmac_f32_e32 v14, s11, v12
	v_fmac_f32_e32 v15, s3, v12
	ds_write_b64 v11, v[14:15]
	s_cbranch_execnz .LBB22_26
.LBB22_25:                              ;   in Loop: Header=BB22_17 Depth=2
	v_add_u32_e32 v3, s29, v7
	v_lshlrev_b64 v[12:13], 3, v[3:4]
	v_mov_b32_e32 v3, s25
	v_add_co_u32_e32 v12, vcc, s24, v12
	v_addc_co_u32_e32 v13, vcc, v3, v13, vcc
	global_load_dwordx2 v[12:13], v[12:13], off
	s_waitcnt vmcnt(0)
	v_mul_f32_e64 v14, v13, -s3
	v_mul_f32_e32 v15, s11, v13
	v_fmac_f32_e32 v14, s11, v12
	v_fmac_f32_e32 v15, s3, v12
	ds_write_b64 v0, v[14:15]
.LBB22_26:                              ;   in Loop: Header=BB22_17 Depth=2
	s_or_b64 exec, exec, s[38:39]
	s_mov_b32 s23, s43
	s_andn2_b64 vcc, exec, s[36:37]
	s_mov_b64 s[36:37], -1
	s_cbranch_vccz .LBB22_20
.LBB22_27:                              ;   in Loop: Header=BB22_17 Depth=2
                                        ; implicit-def: $sgpr29
                                        ; implicit-def: $sgpr34_sgpr35
	s_andn2_b64 vcc, exec, s[36:37]
	s_cbranch_vccz .LBB22_31
.LBB22_28:                              ;   in Loop: Header=BB22_17 Depth=2
	s_mov_b32 s43, s23
	s_branch .LBB22_17
.LBB22_29:                              ;   in Loop: Header=BB22_17 Depth=2
	s_branch .LBB22_25
.LBB22_30:                              ;   in Loop: Header=BB22_15 Depth=1
	s_mov_b32 s23, s20
.LBB22_31:                              ;   in Loop: Header=BB22_15 Depth=1
	s_cmp_ge_i32 s28, s33
	s_waitcnt lgkmcnt(0)
	s_barrier
	s_cbranch_scc1 .LBB22_46
; %bb.32:                               ;   in Loop: Header=BB22_15 Depth=1
	s_mul_i32 s29, s21, s28
	v_add_u32_e32 v3, s29, v2
	v_mad_u64_u32 v[7:8], s[34:35], s21, v3, v[1:2]
	v_add_u32_e32 v3, s29, v1
	v_mad_u64_u32 v[8:9], s[34:35], s21, v3, v[2:3]
	s_ashr_i32 s29, s28, 31
	s_lshl_b64 s[34:35], s[28:29], 2
	s_add_u32 s34, s6, s34
	s_addc_u32 s35, s7, s35
	s_mov_b32 s43, 0
.LBB22_33:                              ;   Parent Loop BB22_15 Depth=1
                                        ; =>  This Inner Loop Header: Depth=2
	s_load_dword s29, s[34:35], 0x0
	s_mov_b64 s[38:39], -1
	s_waitcnt lgkmcnt(0)
	s_sub_i32 s40, s29, s9
	s_cmp_eq_u32 s40, s31
	s_cselect_b64 s[36:37], -1, 0
	s_cmp_lg_u32 s40, s31
                                        ; implicit-def: $sgpr29
	s_cbranch_scc1 .LBB22_37
; %bb.34:                               ;   in Loop: Header=BB22_33 Depth=2
	s_andn2_b64 vcc, exec, s[38:39]
	s_cbranch_vccz .LBB22_38
.LBB22_35:                              ;   in Loop: Header=BB22_33 Depth=2
	s_andn2_b64 vcc, exec, s[36:37]
	s_mov_b64 s[36:37], -1
	s_cbranch_vccnz .LBB22_43
.LBB22_36:                              ;   in Loop: Header=BB22_33 Depth=2
	s_add_i32 s28, s28, 1
	s_add_i32 s43, s43, s42
	s_add_u32 s34, s34, 4
	s_addc_u32 s35, s35, 0
	s_cmp_ge_i32 s28, s33
	s_cselect_b64 s[36:37], -1, 0
	s_andn2_b64 vcc, exec, s[36:37]
	s_cbranch_vccnz .LBB22_44
	s_branch .LBB22_47
.LBB22_37:                              ;   in Loop: Header=BB22_33 Depth=2
	s_min_i32 s29, s40, s23
	s_cbranch_execnz .LBB22_35
.LBB22_38:                              ;   in Loop: Header=BB22_33 Depth=2
	ds_write_b32 v4, v10 offset:2048
	s_and_saveexec_b64 s[38:39], s[0:1]
	s_cbranch_execz .LBB22_42
; %bb.39:                               ;   in Loop: Header=BB22_33 Depth=2
	s_and_b64 vcc, exec, s[4:5]
	s_cbranch_vccz .LBB22_45
; %bb.40:                               ;   in Loop: Header=BB22_33 Depth=2
	v_add_u32_e32 v3, s43, v8
	v_lshlrev_b64 v[12:13], 3, v[3:4]
	v_mov_b32_e32 v3, s27
	v_add_co_u32_e32 v12, vcc, s26, v12
	v_addc_co_u32_e32 v13, vcc, v3, v13, vcc
	global_load_dwordx2 v[12:13], v[12:13], off
	ds_read_b64 v[14:15], v11
	s_waitcnt vmcnt(0) lgkmcnt(0)
	v_fma_f32 v3, s2, v12, v14
	v_fmac_f32_e32 v15, s17, v12
	v_fma_f32 v14, -s17, v13, v3
	v_fmac_f32_e32 v15, s2, v13
	ds_write_b64 v11, v[14:15]
	s_cbranch_execnz .LBB22_42
.LBB22_41:                              ;   in Loop: Header=BB22_33 Depth=2
	v_add_u32_e32 v3, s43, v7
	v_lshlrev_b64 v[12:13], 3, v[3:4]
	v_mov_b32_e32 v3, s27
	v_add_co_u32_e32 v12, vcc, s26, v12
	v_addc_co_u32_e32 v13, vcc, v3, v13, vcc
	global_load_dwordx2 v[12:13], v[12:13], off
	ds_read_b64 v[14:15], v0
	s_waitcnt vmcnt(0) lgkmcnt(0)
	v_fma_f32 v3, s2, v12, v14
	v_fmac_f32_e32 v15, s17, v12
	v_fma_f32 v14, -s17, v13, v3
	v_fmac_f32_e32 v15, s2, v13
	ds_write_b64 v0, v[14:15]
.LBB22_42:                              ;   in Loop: Header=BB22_33 Depth=2
	s_or_b64 exec, exec, s[38:39]
	s_mov_b32 s29, s23
	s_andn2_b64 vcc, exec, s[36:37]
	s_mov_b64 s[36:37], -1
	s_cbranch_vccz .LBB22_36
.LBB22_43:                              ;   in Loop: Header=BB22_33 Depth=2
                                        ; implicit-def: $sgpr43
                                        ; implicit-def: $sgpr34_sgpr35
	s_andn2_b64 vcc, exec, s[36:37]
	s_cbranch_vccz .LBB22_47
.LBB22_44:                              ;   in Loop: Header=BB22_33 Depth=2
	s_mov_b32 s23, s29
	s_branch .LBB22_33
.LBB22_45:                              ;   in Loop: Header=BB22_33 Depth=2
	s_branch .LBB22_41
.LBB22_46:                              ;   in Loop: Header=BB22_15 Depth=1
	s_mov_b32 s29, s23
.LBB22_47:                              ;   in Loop: Header=BB22_15 Depth=1
	s_waitcnt lgkmcnt(0)
	s_barrier
	ds_read_b32 v3, v4 offset:2048
	s_waitcnt lgkmcnt(0)
	v_cmp_eq_u32_e32 vcc, 0, v3
	s_cbranch_vccnz .LBB22_14
; %bb.48:                               ;   in Loop: Header=BB22_15 Depth=1
	s_add_i32 s23, s31, s10
	s_ashr_i32 s31, s30, 31
	s_lshl_b64 s[34:35], s[30:31], 2
	s_add_u32 s34, s12, s34
	s_addc_u32 s35, s13, s35
	v_mov_b32_e32 v3, s23
	global_store_dword v4, v3, s[34:35]
	s_and_saveexec_b64 s[34:35], s[0:1]
	s_cbranch_execz .LBB22_13
; %bb.49:                               ;   in Loop: Header=BB22_15 Depth=1
	s_mul_i32 s23, s30, s21
	s_and_b64 vcc, exec, s[4:5]
	s_cbranch_vccz .LBB22_51
; %bb.50:                               ;   in Loop: Header=BB22_15 Depth=1
	v_add_u32_e32 v3, s23, v1
	v_mad_u64_u32 v[7:8], s[36:37], v3, s21, v[2:3]
	v_mov_b32_e32 v8, v4
	ds_read_b64 v[12:13], v11
	v_lshlrev_b64 v[7:8], 3, v[7:8]
	v_mov_b32_e32 v3, s15
	v_add_co_u32_e32 v7, vcc, s14, v7
	v_addc_co_u32_e32 v8, vcc, v3, v8, vcc
	s_waitcnt lgkmcnt(0)
	global_store_dwordx2 v[7:8], v[12:13], off
	s_cbranch_execnz .LBB22_13
	s_branch .LBB22_52
.LBB22_51:                              ;   in Loop: Header=BB22_15 Depth=1
.LBB22_52:                              ;   in Loop: Header=BB22_15 Depth=1
	v_add_u32_e32 v3, s23, v2
	v_mad_u64_u32 v[7:8], s[36:37], v3, s21, v[1:2]
	v_mov_b32_e32 v8, v4
	ds_read_b64 v[12:13], v0
	v_lshlrev_b64 v[7:8], 3, v[7:8]
	v_mov_b32_e32 v3, s15
	v_add_co_u32_e32 v7, vcc, s14, v7
	v_addc_co_u32_e32 v8, vcc, v3, v8, vcc
	s_waitcnt lgkmcnt(0)
	global_store_dwordx2 v[7:8], v[12:13], off
	s_branch .LBB22_13
.LBB22_53:
	s_endpgm
	.section	.rodata,"a",@progbits
	.p2align	6, 0x0
	.amdhsa_kernel _ZN9rocsparseL39bsrgeam_block_per_row_multipass_kernel2ILj256ELj16E21rocsparse_complex_numIfEEEv20rocsparse_direction_iiiNS_24const_host_device_scalarIT1_EEPKiS8_PKS5_S6_S8_S8_SA_S8_PiPS5_21rocsparse_index_base_SD_SD_b
		.amdhsa_group_segment_fixed_size 2052
		.amdhsa_private_segment_fixed_size 0
		.amdhsa_kernarg_size 120
		.amdhsa_user_sgpr_count 6
		.amdhsa_user_sgpr_private_segment_buffer 1
		.amdhsa_user_sgpr_dispatch_ptr 0
		.amdhsa_user_sgpr_queue_ptr 0
		.amdhsa_user_sgpr_kernarg_segment_ptr 1
		.amdhsa_user_sgpr_dispatch_id 0
		.amdhsa_user_sgpr_flat_scratch_init 0
		.amdhsa_user_sgpr_private_segment_size 0
		.amdhsa_uses_dynamic_stack 0
		.amdhsa_system_sgpr_private_segment_wavefront_offset 0
		.amdhsa_system_sgpr_workgroup_id_x 1
		.amdhsa_system_sgpr_workgroup_id_y 0
		.amdhsa_system_sgpr_workgroup_id_z 0
		.amdhsa_system_sgpr_workgroup_info 0
		.amdhsa_system_vgpr_workitem_id 0
		.amdhsa_next_free_vgpr 16
		.amdhsa_next_free_sgpr 44
		.amdhsa_reserve_vcc 1
		.amdhsa_reserve_flat_scratch 0
		.amdhsa_float_round_mode_32 0
		.amdhsa_float_round_mode_16_64 0
		.amdhsa_float_denorm_mode_32 3
		.amdhsa_float_denorm_mode_16_64 3
		.amdhsa_dx10_clamp 1
		.amdhsa_ieee_mode 1
		.amdhsa_fp16_overflow 0
		.amdhsa_exception_fp_ieee_invalid_op 0
		.amdhsa_exception_fp_denorm_src 0
		.amdhsa_exception_fp_ieee_div_zero 0
		.amdhsa_exception_fp_ieee_overflow 0
		.amdhsa_exception_fp_ieee_underflow 0
		.amdhsa_exception_fp_ieee_inexact 0
		.amdhsa_exception_int_div_zero 0
	.end_amdhsa_kernel
	.section	.text._ZN9rocsparseL39bsrgeam_block_per_row_multipass_kernel2ILj256ELj16E21rocsparse_complex_numIfEEEv20rocsparse_direction_iiiNS_24const_host_device_scalarIT1_EEPKiS8_PKS5_S6_S8_S8_SA_S8_PiPS5_21rocsparse_index_base_SD_SD_b,"axG",@progbits,_ZN9rocsparseL39bsrgeam_block_per_row_multipass_kernel2ILj256ELj16E21rocsparse_complex_numIfEEEv20rocsparse_direction_iiiNS_24const_host_device_scalarIT1_EEPKiS8_PKS5_S6_S8_S8_SA_S8_PiPS5_21rocsparse_index_base_SD_SD_b,comdat
.Lfunc_end22:
	.size	_ZN9rocsparseL39bsrgeam_block_per_row_multipass_kernel2ILj256ELj16E21rocsparse_complex_numIfEEEv20rocsparse_direction_iiiNS_24const_host_device_scalarIT1_EEPKiS8_PKS5_S6_S8_S8_SA_S8_PiPS5_21rocsparse_index_base_SD_SD_b, .Lfunc_end22-_ZN9rocsparseL39bsrgeam_block_per_row_multipass_kernel2ILj256ELj16E21rocsparse_complex_numIfEEEv20rocsparse_direction_iiiNS_24const_host_device_scalarIT1_EEPKiS8_PKS5_S6_S8_S8_SA_S8_PiPS5_21rocsparse_index_base_SD_SD_b
                                        ; -- End function
	.set _ZN9rocsparseL39bsrgeam_block_per_row_multipass_kernel2ILj256ELj16E21rocsparse_complex_numIfEEEv20rocsparse_direction_iiiNS_24const_host_device_scalarIT1_EEPKiS8_PKS5_S6_S8_S8_SA_S8_PiPS5_21rocsparse_index_base_SD_SD_b.num_vgpr, 16
	.set _ZN9rocsparseL39bsrgeam_block_per_row_multipass_kernel2ILj256ELj16E21rocsparse_complex_numIfEEEv20rocsparse_direction_iiiNS_24const_host_device_scalarIT1_EEPKiS8_PKS5_S6_S8_S8_SA_S8_PiPS5_21rocsparse_index_base_SD_SD_b.num_agpr, 0
	.set _ZN9rocsparseL39bsrgeam_block_per_row_multipass_kernel2ILj256ELj16E21rocsparse_complex_numIfEEEv20rocsparse_direction_iiiNS_24const_host_device_scalarIT1_EEPKiS8_PKS5_S6_S8_S8_SA_S8_PiPS5_21rocsparse_index_base_SD_SD_b.numbered_sgpr, 44
	.set _ZN9rocsparseL39bsrgeam_block_per_row_multipass_kernel2ILj256ELj16E21rocsparse_complex_numIfEEEv20rocsparse_direction_iiiNS_24const_host_device_scalarIT1_EEPKiS8_PKS5_S6_S8_S8_SA_S8_PiPS5_21rocsparse_index_base_SD_SD_b.num_named_barrier, 0
	.set _ZN9rocsparseL39bsrgeam_block_per_row_multipass_kernel2ILj256ELj16E21rocsparse_complex_numIfEEEv20rocsparse_direction_iiiNS_24const_host_device_scalarIT1_EEPKiS8_PKS5_S6_S8_S8_SA_S8_PiPS5_21rocsparse_index_base_SD_SD_b.private_seg_size, 0
	.set _ZN9rocsparseL39bsrgeam_block_per_row_multipass_kernel2ILj256ELj16E21rocsparse_complex_numIfEEEv20rocsparse_direction_iiiNS_24const_host_device_scalarIT1_EEPKiS8_PKS5_S6_S8_S8_SA_S8_PiPS5_21rocsparse_index_base_SD_SD_b.uses_vcc, 1
	.set _ZN9rocsparseL39bsrgeam_block_per_row_multipass_kernel2ILj256ELj16E21rocsparse_complex_numIfEEEv20rocsparse_direction_iiiNS_24const_host_device_scalarIT1_EEPKiS8_PKS5_S6_S8_S8_SA_S8_PiPS5_21rocsparse_index_base_SD_SD_b.uses_flat_scratch, 0
	.set _ZN9rocsparseL39bsrgeam_block_per_row_multipass_kernel2ILj256ELj16E21rocsparse_complex_numIfEEEv20rocsparse_direction_iiiNS_24const_host_device_scalarIT1_EEPKiS8_PKS5_S6_S8_S8_SA_S8_PiPS5_21rocsparse_index_base_SD_SD_b.has_dyn_sized_stack, 0
	.set _ZN9rocsparseL39bsrgeam_block_per_row_multipass_kernel2ILj256ELj16E21rocsparse_complex_numIfEEEv20rocsparse_direction_iiiNS_24const_host_device_scalarIT1_EEPKiS8_PKS5_S6_S8_S8_SA_S8_PiPS5_21rocsparse_index_base_SD_SD_b.has_recursion, 0
	.set _ZN9rocsparseL39bsrgeam_block_per_row_multipass_kernel2ILj256ELj16E21rocsparse_complex_numIfEEEv20rocsparse_direction_iiiNS_24const_host_device_scalarIT1_EEPKiS8_PKS5_S6_S8_S8_SA_S8_PiPS5_21rocsparse_index_base_SD_SD_b.has_indirect_call, 0
	.section	.AMDGPU.csdata,"",@progbits
; Kernel info:
; codeLenInByte = 1496
; TotalNumSgprs: 48
; NumVgprs: 16
; ScratchSize: 0
; MemoryBound: 0
; FloatMode: 240
; IeeeMode: 1
; LDSByteSize: 2052 bytes/workgroup (compile time only)
; SGPRBlocks: 5
; VGPRBlocks: 3
; NumSGPRsForWavesPerEU: 48
; NumVGPRsForWavesPerEU: 16
; Occupancy: 10
; WaveLimiterHint : 1
; COMPUTE_PGM_RSRC2:SCRATCH_EN: 0
; COMPUTE_PGM_RSRC2:USER_SGPR: 6
; COMPUTE_PGM_RSRC2:TRAP_HANDLER: 0
; COMPUTE_PGM_RSRC2:TGID_X_EN: 1
; COMPUTE_PGM_RSRC2:TGID_Y_EN: 0
; COMPUTE_PGM_RSRC2:TGID_Z_EN: 0
; COMPUTE_PGM_RSRC2:TIDIG_COMP_CNT: 0
	.section	.text._ZN9rocsparseL39bsrgeam_block_per_row_multipass_kernel2ILj256ELj32E21rocsparse_complex_numIfEEEv20rocsparse_direction_iiiNS_24const_host_device_scalarIT1_EEPKiS8_PKS5_S6_S8_S8_SA_S8_PiPS5_21rocsparse_index_base_SD_SD_b,"axG",@progbits,_ZN9rocsparseL39bsrgeam_block_per_row_multipass_kernel2ILj256ELj32E21rocsparse_complex_numIfEEEv20rocsparse_direction_iiiNS_24const_host_device_scalarIT1_EEPKiS8_PKS5_S6_S8_S8_SA_S8_PiPS5_21rocsparse_index_base_SD_SD_b,comdat
	.globl	_ZN9rocsparseL39bsrgeam_block_per_row_multipass_kernel2ILj256ELj32E21rocsparse_complex_numIfEEEv20rocsparse_direction_iiiNS_24const_host_device_scalarIT1_EEPKiS8_PKS5_S6_S8_S8_SA_S8_PiPS5_21rocsparse_index_base_SD_SD_b ; -- Begin function _ZN9rocsparseL39bsrgeam_block_per_row_multipass_kernel2ILj256ELj32E21rocsparse_complex_numIfEEEv20rocsparse_direction_iiiNS_24const_host_device_scalarIT1_EEPKiS8_PKS5_S6_S8_S8_SA_S8_PiPS5_21rocsparse_index_base_SD_SD_b
	.p2align	8
	.type	_ZN9rocsparseL39bsrgeam_block_per_row_multipass_kernel2ILj256ELj32E21rocsparse_complex_numIfEEEv20rocsparse_direction_iiiNS_24const_host_device_scalarIT1_EEPKiS8_PKS5_S6_S8_S8_SA_S8_PiPS5_21rocsparse_index_base_SD_SD_b,@function
_ZN9rocsparseL39bsrgeam_block_per_row_multipass_kernel2ILj256ELj32E21rocsparse_complex_numIfEEEv20rocsparse_direction_iiiNS_24const_host_device_scalarIT1_EEPKiS8_PKS5_S6_S8_S8_SA_S8_PiPS5_21rocsparse_index_base_SD_SD_b: ; @_ZN9rocsparseL39bsrgeam_block_per_row_multipass_kernel2ILj256ELj32E21rocsparse_complex_numIfEEEv20rocsparse_direction_iiiNS_24const_host_device_scalarIT1_EEPKiS8_PKS5_S6_S8_S8_SA_S8_PiPS5_21rocsparse_index_base_SD_SD_b
; %bb.0:
	s_load_dwordx4 s[8:11], s[4:5], 0x68
	s_load_dwordx2 s[2:3], s[4:5], 0x10
	s_load_dwordx2 s[16:17], s[4:5], 0x30
	s_waitcnt lgkmcnt(0)
	s_bitcmp1_b32 s11, 0
	s_cselect_b64 s[0:1], -1, 0
	s_xor_b64 s[12:13], s[0:1], -1
	s_and_b64 vcc, exec, s[0:1]
	s_mov_b32 s11, s2
	s_cbranch_vccnz .LBB23_2
; %bb.1:
	s_load_dword s11, s[2:3], 0x0
.LBB23_2:
	v_cndmask_b32_e64 v1, 0, 1, s[12:13]
	v_cmp_ne_u32_e64 s[0:1], 1, v1
	s_andn2_b64 vcc, exec, s[12:13]
	s_cbranch_vccnz .LBB23_4
; %bb.3:
	s_load_dword s3, s[2:3], 0x4
.LBB23_4:
	s_nop 0
	s_load_dwordx2 s[12:13], s[4:5], 0x50
	s_load_dwordx2 s[20:21], s[4:5], 0x18
	;; [unrolled: 1-line block ×3, first 2 shown]
	s_and_b64 vcc, exec, s[0:1]
	s_mov_b32 s2, s16
	s_cbranch_vccnz .LBB23_6
; %bb.5:
	s_load_dword s2, s[16:17], 0x0
.LBB23_6:
	s_load_dwordx2 s[18:19], s[4:5], 0x20
	s_and_b64 vcc, exec, s[0:1]
	s_cbranch_vccnz .LBB23_8
; %bb.7:
	s_load_dword s17, s[16:17], 0x4
.LBB23_8:
	s_ashr_i32 s7, s6, 31
	s_lshl_b64 s[24:25], s[6:7], 2
	s_waitcnt lgkmcnt(0)
	s_add_u32 s22, s20, s24
	s_addc_u32 s23, s21, s25
	s_load_dwordx2 s[0:1], s[22:23], 0x0
	s_load_dwordx2 s[6:7], s[4:5], 0x40
	;; [unrolled: 1-line block ×3, first 2 shown]
	s_waitcnt lgkmcnt(0)
	s_sub_i32 s22, s0, s8
	s_add_u32 s14, s14, s24
	s_addc_u32 s15, s15, s25
	s_load_dwordx2 s[30:31], s[14:15], 0x0
	s_add_u32 s28, s12, s24
	s_addc_u32 s29, s13, s25
	s_cmp_ge_i32 s0, s1
	s_mov_b32 s0, s20
	s_cbranch_scc1 .LBB23_10
; %bb.9:
	s_ashr_i32 s23, s22, 31
	s_lshl_b64 s[12:13], s[22:23], 2
	s_add_u32 s12, s18, s12
	s_addc_u32 s13, s19, s13
	s_load_dword s0, s[12:13], 0x0
	s_waitcnt lgkmcnt(0)
	s_sub_i32 s0, s0, s8
.LBB23_10:
	s_load_dwordx4 s[12:15], s[4:5], 0x58
	s_load_dwordx2 s[24:25], s[4:5], 0x28
	s_load_dwordx2 s[26:27], s[4:5], 0x48
	s_load_dword s23, s[28:29], 0x0
	s_waitcnt lgkmcnt(0)
	s_sub_i32 s28, s30, s9
	s_cmp_ge_i32 s30, s31
	s_mov_b32 s29, s20
	s_cbranch_scc1 .LBB23_12
; %bb.11:
	s_ashr_i32 s29, s28, 31
	s_lshl_b64 s[34:35], s[28:29], 2
	s_add_u32 s34, s6, s34
	s_addc_u32 s35, s7, s35
	s_load_dword s16, s[34:35], 0x0
	s_waitcnt lgkmcnt(0)
	s_sub_i32 s29, s16, s9
.LBB23_12:
	s_sub_i32 s16, s1, s8
	s_load_dword s1, s[4:5], 0x0
	v_and_b32_e32 v1, 7, v0
	v_lshrrev_b32_e32 v0, 3, v0
	s_sub_i32 s33, s31, s9
	s_sub_i32 s30, s23, s10
	s_min_i32 s31, s29, s0
	v_lshlrev_b32_e32 v2, 8, v0
	s_movk_i32 s0, 0xff08
	v_lshl_or_b32 v12, v1, 3, v2
	v_cmp_gt_i32_e32 vcc, s21, v0
	v_mad_i32_i24 v2, v0, s0, v2
	s_waitcnt lgkmcnt(0)
	s_cmp_lg_u32 s1, 0
	v_cmp_gt_u32_e64 s[0:1], s21, v1
	v_or_b32_e32 v13, 8, v1
	s_cselect_b64 s[4:5], -1, 0
	s_and_b64 s[34:35], vcc, s[0:1]
	v_cmp_gt_u32_e64 s[0:1], s21, v13
	v_or_b32_e32 v14, 16, v1
	s_mov_b32 s42, 0
	v_lshlrev_b32_e32 v6, 8, v1
	s_and_b64 s[36:37], vcc, s[0:1]
	v_cmp_gt_u32_e64 s[0:1], s21, v14
	v_or_b32_e32 v15, 24, v1
	v_lshlrev_b32_e32 v7, 8, v13
	s_and_b64 s[38:39], vcc, s[0:1]
	v_lshlrev_b32_e32 v8, 8, v14
	v_cmp_gt_u32_e64 s[0:1], s21, v15
	v_lshlrev_b32_e32 v9, 8, v15
	s_mov_b32 s43, s42
	v_mov_b32_e32 v4, s42
	v_add_u32_e32 v17, v2, v6
	v_cndmask_b32_e64 v6, 0, 1, s[4:5]
	s_and_b64 s[40:41], vcc, s[0:1]
	s_mul_i32 s50, s21, s21
	v_mov_b32_e32 v3, 0
	v_mov_b32_e32 v5, s43
	v_mov_b32_e32 v16, 1
	v_cmp_ne_u32_e64 s[0:1], 1, v6
	v_add_u32_e32 v18, v2, v7
	v_add_u32_e32 v19, v2, v8
	;; [unrolled: 1-line block ×3, first 2 shown]
	s_branch .LBB23_15
.LBB23_13:                              ;   in Loop: Header=BB23_15 Depth=1
	s_or_b64 exec, exec, s[42:43]
.LBB23_14:                              ;   in Loop: Header=BB23_15 Depth=1
	s_waitcnt vmcnt(0)
	s_barrier
	ds_read_b32 v2, v3 offset:8192
	s_mov_b32 s31, s48
	s_waitcnt lgkmcnt(0)
	s_barrier
	v_readfirstlane_b32 s23, v2
	s_add_i32 s30, s23, s30
	s_cmp_lt_i32 s48, s20
	s_cbranch_scc0 .LBB23_98
.LBB23_15:                              ; =>This Loop Header: Depth=1
                                        ;     Child Loop BB23_17 Depth 2
                                        ;     Child Loop BB23_48 Depth 2
	s_cmp_ge_i32 s22, s16
	ds_write_b32 v3, v3 offset:8192
	ds_write2_b64 v12, v[4:5], v[4:5] offset1:8
	ds_write2_b64 v12, v[4:5], v[4:5] offset0:16 offset1:24
	s_waitcnt lgkmcnt(0)
	s_barrier
	s_cbranch_scc1 .LBB23_45
; %bb.16:                               ;   in Loop: Header=BB23_15 Depth=1
	s_mul_i32 s23, s21, s22
	v_add_u32_e32 v2, s23, v1
	v_mad_u64_u32 v[6:7], s[42:43], s21, v2, v[0:1]
	v_add_u32_e32 v2, s23, v13
	v_mad_u64_u32 v[7:8], s[42:43], s21, v2, v[0:1]
	;; [unrolled: 2-line block ×5, first 2 shown]
	s_ashr_i32 s23, s22, 31
	s_lshl_b64 s[42:43], s[22:23], 2
	s_add_u32 s42, s18, s42
	s_addc_u32 s43, s19, s43
	s_mov_b32 s29, 0
	s_mov_b32 s51, s20
.LBB23_17:                              ;   Parent Loop BB23_15 Depth=1
                                        ; =>  This Inner Loop Header: Depth=2
	s_load_dword s23, s[42:43], 0x0
	s_mov_b64 s[46:47], -1
	s_waitcnt lgkmcnt(0)
	s_sub_i32 s48, s23, s8
	s_cmp_eq_u32 s48, s31
	s_cselect_b64 s[44:45], -1, 0
	s_cmp_lg_u32 s48, s31
                                        ; implicit-def: $sgpr23
	s_cbranch_scc1 .LBB23_21
; %bb.18:                               ;   in Loop: Header=BB23_17 Depth=2
	s_andn2_b64 vcc, exec, s[46:47]
	s_cbranch_vccz .LBB23_22
.LBB23_19:                              ;   in Loop: Header=BB23_17 Depth=2
	s_andn2_b64 vcc, exec, s[44:45]
	s_mov_b64 s[44:45], -1
	s_cbranch_vccnz .LBB23_39
.LBB23_20:                              ;   in Loop: Header=BB23_17 Depth=2
	s_add_i32 s22, s22, 1
	s_add_i32 s29, s29, s50
	s_add_u32 s42, s42, 4
	s_addc_u32 s43, s43, 0
	s_cmp_ge_i32 s22, s16
	s_cselect_b64 s[44:45], -1, 0
	s_andn2_b64 vcc, exec, s[44:45]
	s_cbranch_vccnz .LBB23_40
	s_branch .LBB23_46
.LBB23_21:                              ;   in Loop: Header=BB23_17 Depth=2
	s_min_i32 s23, s48, s51
	s_cbranch_execnz .LBB23_19
.LBB23_22:                              ;   in Loop: Header=BB23_17 Depth=2
	ds_write_b32 v3, v16 offset:8192
	s_and_saveexec_b64 s[46:47], s[34:35]
	s_cbranch_execz .LBB23_26
; %bb.23:                               ;   in Loop: Header=BB23_17 Depth=2
	s_and_b64 vcc, exec, s[4:5]
	s_cbranch_vccz .LBB23_41
; %bb.24:                               ;   in Loop: Header=BB23_17 Depth=2
	v_add_u32_e32 v2, s29, v6
	v_lshlrev_b64 v[21:22], 3, v[2:3]
	v_mov_b32_e32 v2, s25
	v_add_co_u32_e32 v21, vcc, s24, v21
	v_addc_co_u32_e32 v22, vcc, v2, v22, vcc
	global_load_dwordx2 v[21:22], v[21:22], off
	s_waitcnt vmcnt(0)
	v_mul_f32_e64 v23, v22, -s3
	v_mul_f32_e32 v24, s11, v22
	v_fmac_f32_e32 v23, s11, v21
	v_fmac_f32_e32 v24, s3, v21
	ds_write_b64 v17, v[23:24]
	s_cbranch_execnz .LBB23_26
.LBB23_25:                              ;   in Loop: Header=BB23_17 Depth=2
	v_add_u32_e32 v2, s29, v10
	v_lshlrev_b64 v[21:22], 3, v[2:3]
	v_mov_b32_e32 v2, s25
	v_add_co_u32_e32 v21, vcc, s24, v21
	v_addc_co_u32_e32 v22, vcc, v2, v22, vcc
	global_load_dwordx2 v[21:22], v[21:22], off
	s_waitcnt vmcnt(0)
	v_mul_f32_e64 v23, v22, -s3
	v_mul_f32_e32 v24, s11, v22
	v_fmac_f32_e32 v23, s11, v21
	v_fmac_f32_e32 v24, s3, v21
	ds_write_b64 v12, v[23:24]
.LBB23_26:                              ;   in Loop: Header=BB23_17 Depth=2
	s_or_b64 exec, exec, s[46:47]
	s_and_saveexec_b64 s[46:47], s[36:37]
	s_cbranch_execz .LBB23_30
; %bb.27:                               ;   in Loop: Header=BB23_17 Depth=2
	s_and_b64 vcc, exec, s[0:1]
	s_cbranch_vccnz .LBB23_42
; %bb.28:                               ;   in Loop: Header=BB23_17 Depth=2
	v_add_u32_e32 v2, s29, v7
	v_lshlrev_b64 v[21:22], 3, v[2:3]
	v_mov_b32_e32 v2, s25
	v_add_co_u32_e32 v21, vcc, s24, v21
	v_addc_co_u32_e32 v22, vcc, v2, v22, vcc
	global_load_dwordx2 v[21:22], v[21:22], off
	s_waitcnt vmcnt(0)
	v_mul_f32_e64 v23, v22, -s3
	v_mul_f32_e32 v24, s11, v22
	v_fmac_f32_e32 v23, s11, v21
	v_fmac_f32_e32 v24, s3, v21
	ds_write_b64 v18, v[23:24]
	s_cbranch_execnz .LBB23_30
.LBB23_29:                              ;   in Loop: Header=BB23_17 Depth=2
	v_add3_u32 v2, v10, s29, 8
	v_lshlrev_b64 v[21:22], 3, v[2:3]
	v_mov_b32_e32 v2, s25
	v_add_co_u32_e32 v21, vcc, s24, v21
	v_addc_co_u32_e32 v22, vcc, v2, v22, vcc
	global_load_dwordx2 v[21:22], v[21:22], off
	s_waitcnt vmcnt(0)
	v_mul_f32_e64 v23, v22, -s3
	v_mul_f32_e32 v24, s11, v22
	v_fmac_f32_e32 v23, s11, v21
	v_fmac_f32_e32 v24, s3, v21
	ds_write_b64 v12, v[23:24] offset:64
.LBB23_30:                              ;   in Loop: Header=BB23_17 Depth=2
	s_or_b64 exec, exec, s[46:47]
	s_and_saveexec_b64 s[46:47], s[38:39]
	s_cbranch_execz .LBB23_34
; %bb.31:                               ;   in Loop: Header=BB23_17 Depth=2
	s_and_b64 vcc, exec, s[0:1]
	s_cbranch_vccnz .LBB23_43
; %bb.32:                               ;   in Loop: Header=BB23_17 Depth=2
	v_add_u32_e32 v2, s29, v8
	v_lshlrev_b64 v[21:22], 3, v[2:3]
	v_mov_b32_e32 v2, s25
	v_add_co_u32_e32 v21, vcc, s24, v21
	v_addc_co_u32_e32 v22, vcc, v2, v22, vcc
	global_load_dwordx2 v[21:22], v[21:22], off
	s_waitcnt vmcnt(0)
	v_mul_f32_e64 v23, v22, -s3
	v_mul_f32_e32 v24, s11, v22
	v_fmac_f32_e32 v23, s11, v21
	v_fmac_f32_e32 v24, s3, v21
	ds_write_b64 v19, v[23:24]
	s_cbranch_execnz .LBB23_34
.LBB23_33:                              ;   in Loop: Header=BB23_17 Depth=2
	v_add3_u32 v2, v10, s29, 16
	v_lshlrev_b64 v[21:22], 3, v[2:3]
	v_mov_b32_e32 v2, s25
	v_add_co_u32_e32 v21, vcc, s24, v21
	v_addc_co_u32_e32 v22, vcc, v2, v22, vcc
	global_load_dwordx2 v[21:22], v[21:22], off
	s_waitcnt vmcnt(0)
	v_mul_f32_e64 v23, v22, -s3
	v_mul_f32_e32 v24, s11, v22
	v_fmac_f32_e32 v23, s11, v21
	v_fmac_f32_e32 v24, s3, v21
	ds_write_b64 v12, v[23:24] offset:128
.LBB23_34:                              ;   in Loop: Header=BB23_17 Depth=2
	s_or_b64 exec, exec, s[46:47]
	s_and_saveexec_b64 s[46:47], s[40:41]
	s_cbranch_execz .LBB23_38
; %bb.35:                               ;   in Loop: Header=BB23_17 Depth=2
	s_and_b64 vcc, exec, s[0:1]
	s_cbranch_vccnz .LBB23_44
; %bb.36:                               ;   in Loop: Header=BB23_17 Depth=2
	v_add_u32_e32 v2, s29, v9
	v_lshlrev_b64 v[21:22], 3, v[2:3]
	v_mov_b32_e32 v2, s25
	v_add_co_u32_e32 v21, vcc, s24, v21
	v_addc_co_u32_e32 v22, vcc, v2, v22, vcc
	global_load_dwordx2 v[21:22], v[21:22], off
	s_waitcnt vmcnt(0)
	v_mul_f32_e64 v23, v22, -s3
	v_mul_f32_e32 v24, s11, v22
	v_fmac_f32_e32 v23, s11, v21
	v_fmac_f32_e32 v24, s3, v21
	ds_write_b64 v20, v[23:24]
	s_cbranch_execnz .LBB23_38
.LBB23_37:                              ;   in Loop: Header=BB23_17 Depth=2
	v_add3_u32 v2, v10, s29, 24
	v_lshlrev_b64 v[21:22], 3, v[2:3]
	v_mov_b32_e32 v2, s25
	v_add_co_u32_e32 v21, vcc, s24, v21
	v_addc_co_u32_e32 v22, vcc, v2, v22, vcc
	global_load_dwordx2 v[21:22], v[21:22], off
	s_waitcnt vmcnt(0)
	v_mul_f32_e64 v23, v22, -s3
	v_mul_f32_e32 v24, s11, v22
	v_fmac_f32_e32 v23, s11, v21
	v_fmac_f32_e32 v24, s3, v21
	ds_write_b64 v12, v[23:24] offset:192
.LBB23_38:                              ;   in Loop: Header=BB23_17 Depth=2
	s_or_b64 exec, exec, s[46:47]
	s_mov_b32 s23, s51
	s_andn2_b64 vcc, exec, s[44:45]
	s_mov_b64 s[44:45], -1
	s_cbranch_vccz .LBB23_20
.LBB23_39:                              ;   in Loop: Header=BB23_17 Depth=2
                                        ; implicit-def: $sgpr29
                                        ; implicit-def: $sgpr42_sgpr43
	s_andn2_b64 vcc, exec, s[44:45]
	s_cbranch_vccz .LBB23_46
.LBB23_40:                              ;   in Loop: Header=BB23_17 Depth=2
	s_mov_b32 s51, s23
	s_branch .LBB23_17
.LBB23_41:                              ;   in Loop: Header=BB23_17 Depth=2
	s_branch .LBB23_25
.LBB23_42:                              ;   in Loop: Header=BB23_17 Depth=2
	s_branch .LBB23_29
.LBB23_43:                              ;   in Loop: Header=BB23_17 Depth=2
	s_branch .LBB23_33
.LBB23_44:                              ;   in Loop: Header=BB23_17 Depth=2
	s_branch .LBB23_37
.LBB23_45:                              ;   in Loop: Header=BB23_15 Depth=1
	s_mov_b32 s23, s20
.LBB23_46:                              ;   in Loop: Header=BB23_15 Depth=1
	s_cmp_ge_i32 s28, s33
	s_waitcnt lgkmcnt(0)
	s_barrier
	s_cbranch_scc1 .LBB23_76
; %bb.47:                               ;   in Loop: Header=BB23_15 Depth=1
	s_mul_i32 s29, s21, s28
	v_add_u32_e32 v2, s29, v1
	v_mad_u64_u32 v[6:7], s[42:43], s21, v2, v[0:1]
	v_add_u32_e32 v2, s29, v13
	v_mad_u64_u32 v[7:8], s[42:43], s21, v2, v[0:1]
	;; [unrolled: 2-line block ×5, first 2 shown]
	s_ashr_i32 s29, s28, 31
	s_lshl_b64 s[42:43], s[28:29], 2
	s_add_u32 s42, s6, s42
	s_addc_u32 s43, s7, s43
	s_mov_b32 s29, 0
.LBB23_48:                              ;   Parent Loop BB23_15 Depth=1
                                        ; =>  This Inner Loop Header: Depth=2
	s_load_dword s44, s[42:43], 0x0
	s_mov_b64 s[46:47], -1
                                        ; implicit-def: $sgpr48
	s_waitcnt lgkmcnt(0)
	s_sub_i32 s49, s44, s9
	s_cmp_eq_u32 s49, s31
	s_cselect_b64 s[44:45], -1, 0
	s_cmp_lg_u32 s49, s31
	s_cbranch_scc1 .LBB23_52
; %bb.49:                               ;   in Loop: Header=BB23_48 Depth=2
	s_andn2_b64 vcc, exec, s[46:47]
	s_cbranch_vccz .LBB23_53
.LBB23_50:                              ;   in Loop: Header=BB23_48 Depth=2
	s_andn2_b64 vcc, exec, s[44:45]
	s_mov_b64 s[44:45], -1
	s_cbranch_vccnz .LBB23_70
.LBB23_51:                              ;   in Loop: Header=BB23_48 Depth=2
	s_add_i32 s28, s28, 1
	s_add_i32 s29, s29, s50
	s_add_u32 s42, s42, 4
	s_addc_u32 s43, s43, 0
	s_cmp_ge_i32 s28, s33
	s_cselect_b64 s[44:45], -1, 0
	s_andn2_b64 vcc, exec, s[44:45]
	s_cbranch_vccnz .LBB23_71
	s_branch .LBB23_77
.LBB23_52:                              ;   in Loop: Header=BB23_48 Depth=2
	s_min_i32 s48, s49, s23
	s_cbranch_execnz .LBB23_50
.LBB23_53:                              ;   in Loop: Header=BB23_48 Depth=2
	ds_write_b32 v3, v16 offset:8192
	s_and_saveexec_b64 s[46:47], s[34:35]
	s_cbranch_execz .LBB23_57
; %bb.54:                               ;   in Loop: Header=BB23_48 Depth=2
	s_and_b64 vcc, exec, s[4:5]
	s_cbranch_vccz .LBB23_72
; %bb.55:                               ;   in Loop: Header=BB23_48 Depth=2
	v_add_u32_e32 v2, s29, v6
	v_lshlrev_b64 v[21:22], 3, v[2:3]
	v_mov_b32_e32 v2, s27
	v_add_co_u32_e32 v21, vcc, s26, v21
	v_addc_co_u32_e32 v22, vcc, v2, v22, vcc
	global_load_dwordx2 v[21:22], v[21:22], off
	ds_read_b64 v[23:24], v17
	s_waitcnt vmcnt(0) lgkmcnt(0)
	v_fma_f32 v2, s2, v21, v23
	v_fmac_f32_e32 v24, s17, v21
	v_fma_f32 v23, -s17, v22, v2
	v_fmac_f32_e32 v24, s2, v22
	ds_write_b64 v17, v[23:24]
	s_cbranch_execnz .LBB23_57
.LBB23_56:                              ;   in Loop: Header=BB23_48 Depth=2
	v_add_u32_e32 v2, s29, v10
	v_lshlrev_b64 v[21:22], 3, v[2:3]
	v_mov_b32_e32 v2, s27
	v_add_co_u32_e32 v21, vcc, s26, v21
	v_addc_co_u32_e32 v22, vcc, v2, v22, vcc
	global_load_dwordx2 v[21:22], v[21:22], off
	ds_read_b64 v[23:24], v12
	s_waitcnt vmcnt(0) lgkmcnt(0)
	v_fma_f32 v2, s2, v21, v23
	v_fmac_f32_e32 v24, s17, v21
	v_fma_f32 v23, -s17, v22, v2
	v_fmac_f32_e32 v24, s2, v22
	ds_write_b64 v12, v[23:24]
.LBB23_57:                              ;   in Loop: Header=BB23_48 Depth=2
	s_or_b64 exec, exec, s[46:47]
	s_and_saveexec_b64 s[46:47], s[36:37]
	s_cbranch_execz .LBB23_61
; %bb.58:                               ;   in Loop: Header=BB23_48 Depth=2
	s_and_b64 vcc, exec, s[0:1]
	s_cbranch_vccnz .LBB23_73
; %bb.59:                               ;   in Loop: Header=BB23_48 Depth=2
	v_add_u32_e32 v2, s29, v7
	v_lshlrev_b64 v[21:22], 3, v[2:3]
	v_mov_b32_e32 v2, s27
	v_add_co_u32_e32 v21, vcc, s26, v21
	v_addc_co_u32_e32 v22, vcc, v2, v22, vcc
	global_load_dwordx2 v[21:22], v[21:22], off
	ds_read_b64 v[23:24], v18
	s_waitcnt vmcnt(0) lgkmcnt(0)
	v_fma_f32 v2, s2, v21, v23
	v_fmac_f32_e32 v24, s17, v21
	v_fma_f32 v23, -s17, v22, v2
	v_fmac_f32_e32 v24, s2, v22
	ds_write_b64 v18, v[23:24]
	s_cbranch_execnz .LBB23_61
.LBB23_60:                              ;   in Loop: Header=BB23_48 Depth=2
	v_add3_u32 v2, v10, s29, 8
	v_lshlrev_b64 v[21:22], 3, v[2:3]
	v_mov_b32_e32 v2, s27
	v_add_co_u32_e32 v21, vcc, s26, v21
	v_addc_co_u32_e32 v22, vcc, v2, v22, vcc
	global_load_dwordx2 v[21:22], v[21:22], off
	ds_read_b64 v[23:24], v12 offset:64
	s_waitcnt vmcnt(0) lgkmcnt(0)
	v_fma_f32 v2, s2, v21, v23
	v_fmac_f32_e32 v24, s17, v21
	v_fma_f32 v23, -s17, v22, v2
	v_fmac_f32_e32 v24, s2, v22
	ds_write_b64 v12, v[23:24] offset:64
.LBB23_61:                              ;   in Loop: Header=BB23_48 Depth=2
	s_or_b64 exec, exec, s[46:47]
	s_and_saveexec_b64 s[46:47], s[38:39]
	s_cbranch_execz .LBB23_65
; %bb.62:                               ;   in Loop: Header=BB23_48 Depth=2
	s_and_b64 vcc, exec, s[0:1]
	s_cbranch_vccnz .LBB23_74
; %bb.63:                               ;   in Loop: Header=BB23_48 Depth=2
	v_add_u32_e32 v2, s29, v8
	v_lshlrev_b64 v[21:22], 3, v[2:3]
	v_mov_b32_e32 v2, s27
	v_add_co_u32_e32 v21, vcc, s26, v21
	v_addc_co_u32_e32 v22, vcc, v2, v22, vcc
	global_load_dwordx2 v[21:22], v[21:22], off
	ds_read_b64 v[23:24], v19
	s_waitcnt vmcnt(0) lgkmcnt(0)
	v_fma_f32 v2, s2, v21, v23
	v_fmac_f32_e32 v24, s17, v21
	v_fma_f32 v23, -s17, v22, v2
	v_fmac_f32_e32 v24, s2, v22
	ds_write_b64 v19, v[23:24]
	s_cbranch_execnz .LBB23_65
.LBB23_64:                              ;   in Loop: Header=BB23_48 Depth=2
	v_add3_u32 v2, v10, s29, 16
	v_lshlrev_b64 v[21:22], 3, v[2:3]
	v_mov_b32_e32 v2, s27
	v_add_co_u32_e32 v21, vcc, s26, v21
	v_addc_co_u32_e32 v22, vcc, v2, v22, vcc
	global_load_dwordx2 v[21:22], v[21:22], off
	ds_read_b64 v[23:24], v12 offset:128
	s_waitcnt vmcnt(0) lgkmcnt(0)
	v_fma_f32 v2, s2, v21, v23
	v_fmac_f32_e32 v24, s17, v21
	v_fma_f32 v23, -s17, v22, v2
	v_fmac_f32_e32 v24, s2, v22
	ds_write_b64 v12, v[23:24] offset:128
.LBB23_65:                              ;   in Loop: Header=BB23_48 Depth=2
	s_or_b64 exec, exec, s[46:47]
	s_and_saveexec_b64 s[46:47], s[40:41]
	s_cbranch_execz .LBB23_69
; %bb.66:                               ;   in Loop: Header=BB23_48 Depth=2
	s_and_b64 vcc, exec, s[0:1]
	s_cbranch_vccnz .LBB23_75
; %bb.67:                               ;   in Loop: Header=BB23_48 Depth=2
	v_add_u32_e32 v2, s29, v9
	v_lshlrev_b64 v[21:22], 3, v[2:3]
	v_mov_b32_e32 v2, s27
	v_add_co_u32_e32 v21, vcc, s26, v21
	v_addc_co_u32_e32 v22, vcc, v2, v22, vcc
	global_load_dwordx2 v[21:22], v[21:22], off
	ds_read_b64 v[23:24], v20
	s_waitcnt vmcnt(0) lgkmcnt(0)
	v_fma_f32 v2, s2, v21, v23
	v_fmac_f32_e32 v24, s17, v21
	v_fma_f32 v23, -s17, v22, v2
	v_fmac_f32_e32 v24, s2, v22
	ds_write_b64 v20, v[23:24]
	s_cbranch_execnz .LBB23_69
.LBB23_68:                              ;   in Loop: Header=BB23_48 Depth=2
	v_add3_u32 v2, v10, s29, 24
	v_lshlrev_b64 v[21:22], 3, v[2:3]
	v_mov_b32_e32 v2, s27
	v_add_co_u32_e32 v21, vcc, s26, v21
	v_addc_co_u32_e32 v22, vcc, v2, v22, vcc
	global_load_dwordx2 v[21:22], v[21:22], off
	ds_read_b64 v[23:24], v12 offset:192
	s_waitcnt vmcnt(0) lgkmcnt(0)
	v_fma_f32 v2, s2, v21, v23
	v_fmac_f32_e32 v24, s17, v21
	v_fma_f32 v23, -s17, v22, v2
	v_fmac_f32_e32 v24, s2, v22
	ds_write_b64 v12, v[23:24] offset:192
.LBB23_69:                              ;   in Loop: Header=BB23_48 Depth=2
	s_or_b64 exec, exec, s[46:47]
	s_mov_b32 s48, s23
	s_andn2_b64 vcc, exec, s[44:45]
	s_mov_b64 s[44:45], -1
	s_cbranch_vccz .LBB23_51
.LBB23_70:                              ;   in Loop: Header=BB23_48 Depth=2
                                        ; implicit-def: $sgpr29
                                        ; implicit-def: $sgpr42_sgpr43
	s_andn2_b64 vcc, exec, s[44:45]
	s_cbranch_vccz .LBB23_77
.LBB23_71:                              ;   in Loop: Header=BB23_48 Depth=2
	s_mov_b32 s23, s48
	s_branch .LBB23_48
.LBB23_72:                              ;   in Loop: Header=BB23_48 Depth=2
	s_branch .LBB23_56
.LBB23_73:                              ;   in Loop: Header=BB23_48 Depth=2
	s_branch .LBB23_60
.LBB23_74:                              ;   in Loop: Header=BB23_48 Depth=2
	s_branch .LBB23_64
.LBB23_75:                              ;   in Loop: Header=BB23_48 Depth=2
	s_branch .LBB23_68
.LBB23_76:                              ;   in Loop: Header=BB23_15 Depth=1
	s_mov_b32 s48, s23
.LBB23_77:                              ;   in Loop: Header=BB23_15 Depth=1
	s_waitcnt lgkmcnt(0)
	s_barrier
	ds_read_b32 v2, v3 offset:8192
	s_waitcnt lgkmcnt(0)
	v_cmp_eq_u32_e32 vcc, 0, v2
	s_cbranch_vccnz .LBB23_14
; %bb.78:                               ;   in Loop: Header=BB23_15 Depth=1
	s_mul_i32 s23, s30, s21
	v_add_u32_e32 v2, s23, v0
	s_add_i32 s29, s31, s10
	s_ashr_i32 s31, s30, 31
	v_mul_lo_u32 v6, v2, s21
	s_lshl_b64 s[42:43], s[30:31], 2
	s_add_u32 s42, s12, s42
	s_addc_u32 s43, s13, s43
	v_mov_b32_e32 v2, s29
	global_store_dword v3, v2, s[42:43]
	s_and_saveexec_b64 s[42:43], s[34:35]
	s_cbranch_execz .LBB23_82
; %bb.79:                               ;   in Loop: Header=BB23_15 Depth=1
	s_and_b64 vcc, exec, s[4:5]
	s_cbranch_vccz .LBB23_93
; %bb.80:                               ;   in Loop: Header=BB23_15 Depth=1
	v_add_u32_e32 v2, s23, v1
	v_mad_u64_u32 v[7:8], s[44:45], v2, s21, v[0:1]
	v_mov_b32_e32 v8, v3
	ds_read_b64 v[9:10], v17
	v_lshlrev_b64 v[7:8], 3, v[7:8]
	v_mov_b32_e32 v2, s15
	v_add_co_u32_e32 v7, vcc, s14, v7
	v_addc_co_u32_e32 v8, vcc, v2, v8, vcc
	s_waitcnt lgkmcnt(0)
	global_store_dwordx2 v[7:8], v[9:10], off
	s_cbranch_execnz .LBB23_82
.LBB23_81:                              ;   in Loop: Header=BB23_15 Depth=1
	v_add_u32_e32 v2, v6, v1
	ds_read_b64 v[9:10], v12
	v_lshlrev_b64 v[7:8], 3, v[2:3]
	v_mov_b32_e32 v2, s15
	v_add_co_u32_e32 v7, vcc, s14, v7
	v_addc_co_u32_e32 v8, vcc, v2, v8, vcc
	s_waitcnt lgkmcnt(0)
	global_store_dwordx2 v[7:8], v[9:10], off
.LBB23_82:                              ;   in Loop: Header=BB23_15 Depth=1
	s_or_b64 exec, exec, s[42:43]
	s_and_saveexec_b64 s[42:43], s[36:37]
	s_cbranch_execz .LBB23_86
; %bb.83:                               ;   in Loop: Header=BB23_15 Depth=1
	s_and_b64 vcc, exec, s[0:1]
	s_cbranch_vccnz .LBB23_94
; %bb.84:                               ;   in Loop: Header=BB23_15 Depth=1
	v_add_u32_e32 v2, s23, v13
	v_mad_u64_u32 v[7:8], s[44:45], v2, s21, v[0:1]
	v_mov_b32_e32 v8, v3
	ds_read_b64 v[9:10], v18
	v_lshlrev_b64 v[7:8], 3, v[7:8]
	v_mov_b32_e32 v2, s15
	v_add_co_u32_e32 v7, vcc, s14, v7
	v_addc_co_u32_e32 v8, vcc, v2, v8, vcc
	s_waitcnt lgkmcnt(0)
	global_store_dwordx2 v[7:8], v[9:10], off
	s_cbranch_execnz .LBB23_86
.LBB23_85:                              ;   in Loop: Header=BB23_15 Depth=1
	v_add_u32_e32 v2, v6, v13
	ds_read_b64 v[9:10], v12 offset:64
	v_lshlrev_b64 v[7:8], 3, v[2:3]
	v_mov_b32_e32 v2, s15
	v_add_co_u32_e32 v7, vcc, s14, v7
	v_addc_co_u32_e32 v8, vcc, v2, v8, vcc
	s_waitcnt lgkmcnt(0)
	global_store_dwordx2 v[7:8], v[9:10], off
.LBB23_86:                              ;   in Loop: Header=BB23_15 Depth=1
	s_or_b64 exec, exec, s[42:43]
	s_and_saveexec_b64 s[42:43], s[38:39]
	s_cbranch_execz .LBB23_90
; %bb.87:                               ;   in Loop: Header=BB23_15 Depth=1
	s_and_b64 vcc, exec, s[0:1]
	s_cbranch_vccnz .LBB23_95
; %bb.88:                               ;   in Loop: Header=BB23_15 Depth=1
	v_add_u32_e32 v2, s23, v14
	v_mad_u64_u32 v[7:8], s[44:45], v2, s21, v[0:1]
	v_mov_b32_e32 v8, v3
	ds_read_b64 v[9:10], v19
	v_lshlrev_b64 v[7:8], 3, v[7:8]
	v_mov_b32_e32 v2, s15
	v_add_co_u32_e32 v7, vcc, s14, v7
	v_addc_co_u32_e32 v8, vcc, v2, v8, vcc
	s_waitcnt lgkmcnt(0)
	global_store_dwordx2 v[7:8], v[9:10], off
	s_cbranch_execnz .LBB23_90
.LBB23_89:                              ;   in Loop: Header=BB23_15 Depth=1
	v_add_u32_e32 v2, v6, v14
	ds_read_b64 v[9:10], v12 offset:128
	v_lshlrev_b64 v[7:8], 3, v[2:3]
	v_mov_b32_e32 v2, s15
	v_add_co_u32_e32 v7, vcc, s14, v7
	v_addc_co_u32_e32 v8, vcc, v2, v8, vcc
	s_waitcnt lgkmcnt(0)
	global_store_dwordx2 v[7:8], v[9:10], off
.LBB23_90:                              ;   in Loop: Header=BB23_15 Depth=1
	s_or_b64 exec, exec, s[42:43]
	s_and_saveexec_b64 s[42:43], s[40:41]
	s_cbranch_execz .LBB23_13
; %bb.91:                               ;   in Loop: Header=BB23_15 Depth=1
	s_and_b64 vcc, exec, s[0:1]
	s_cbranch_vccnz .LBB23_96
; %bb.92:                               ;   in Loop: Header=BB23_15 Depth=1
	v_add_u32_e32 v2, s23, v15
	v_mad_u64_u32 v[7:8], s[44:45], v2, s21, v[0:1]
	v_mov_b32_e32 v8, v3
	ds_read_b64 v[9:10], v20
	v_lshlrev_b64 v[7:8], 3, v[7:8]
	v_mov_b32_e32 v2, s15
	v_add_co_u32_e32 v7, vcc, s14, v7
	v_addc_co_u32_e32 v8, vcc, v2, v8, vcc
	s_waitcnt lgkmcnt(0)
	global_store_dwordx2 v[7:8], v[9:10], off
	s_cbranch_execnz .LBB23_13
	s_branch .LBB23_97
.LBB23_93:                              ;   in Loop: Header=BB23_15 Depth=1
	s_branch .LBB23_81
.LBB23_94:                              ;   in Loop: Header=BB23_15 Depth=1
	s_branch .LBB23_85
.LBB23_95:                              ;   in Loop: Header=BB23_15 Depth=1
	s_branch .LBB23_89
.LBB23_96:                              ;   in Loop: Header=BB23_15 Depth=1
.LBB23_97:                              ;   in Loop: Header=BB23_15 Depth=1
	v_add_u32_e32 v2, v6, v15
	ds_read_b64 v[8:9], v12 offset:192
	v_lshlrev_b64 v[6:7], 3, v[2:3]
	v_mov_b32_e32 v2, s15
	v_add_co_u32_e32 v6, vcc, s14, v6
	v_addc_co_u32_e32 v7, vcc, v2, v7, vcc
	s_waitcnt lgkmcnt(0)
	global_store_dwordx2 v[6:7], v[8:9], off
	s_branch .LBB23_13
.LBB23_98:
	s_endpgm
	.section	.rodata,"a",@progbits
	.p2align	6, 0x0
	.amdhsa_kernel _ZN9rocsparseL39bsrgeam_block_per_row_multipass_kernel2ILj256ELj32E21rocsparse_complex_numIfEEEv20rocsparse_direction_iiiNS_24const_host_device_scalarIT1_EEPKiS8_PKS5_S6_S8_S8_SA_S8_PiPS5_21rocsparse_index_base_SD_SD_b
		.amdhsa_group_segment_fixed_size 8196
		.amdhsa_private_segment_fixed_size 0
		.amdhsa_kernarg_size 120
		.amdhsa_user_sgpr_count 6
		.amdhsa_user_sgpr_private_segment_buffer 1
		.amdhsa_user_sgpr_dispatch_ptr 0
		.amdhsa_user_sgpr_queue_ptr 0
		.amdhsa_user_sgpr_kernarg_segment_ptr 1
		.amdhsa_user_sgpr_dispatch_id 0
		.amdhsa_user_sgpr_flat_scratch_init 0
		.amdhsa_user_sgpr_private_segment_size 0
		.amdhsa_uses_dynamic_stack 0
		.amdhsa_system_sgpr_private_segment_wavefront_offset 0
		.amdhsa_system_sgpr_workgroup_id_x 1
		.amdhsa_system_sgpr_workgroup_id_y 0
		.amdhsa_system_sgpr_workgroup_id_z 0
		.amdhsa_system_sgpr_workgroup_info 0
		.amdhsa_system_vgpr_workitem_id 0
		.amdhsa_next_free_vgpr 33
		.amdhsa_next_free_sgpr 77
		.amdhsa_reserve_vcc 1
		.amdhsa_reserve_flat_scratch 0
		.amdhsa_float_round_mode_32 0
		.amdhsa_float_round_mode_16_64 0
		.amdhsa_float_denorm_mode_32 3
		.amdhsa_float_denorm_mode_16_64 3
		.amdhsa_dx10_clamp 1
		.amdhsa_ieee_mode 1
		.amdhsa_fp16_overflow 0
		.amdhsa_exception_fp_ieee_invalid_op 0
		.amdhsa_exception_fp_denorm_src 0
		.amdhsa_exception_fp_ieee_div_zero 0
		.amdhsa_exception_fp_ieee_overflow 0
		.amdhsa_exception_fp_ieee_underflow 0
		.amdhsa_exception_fp_ieee_inexact 0
		.amdhsa_exception_int_div_zero 0
	.end_amdhsa_kernel
	.section	.text._ZN9rocsparseL39bsrgeam_block_per_row_multipass_kernel2ILj256ELj32E21rocsparse_complex_numIfEEEv20rocsparse_direction_iiiNS_24const_host_device_scalarIT1_EEPKiS8_PKS5_S6_S8_S8_SA_S8_PiPS5_21rocsparse_index_base_SD_SD_b,"axG",@progbits,_ZN9rocsparseL39bsrgeam_block_per_row_multipass_kernel2ILj256ELj32E21rocsparse_complex_numIfEEEv20rocsparse_direction_iiiNS_24const_host_device_scalarIT1_EEPKiS8_PKS5_S6_S8_S8_SA_S8_PiPS5_21rocsparse_index_base_SD_SD_b,comdat
.Lfunc_end23:
	.size	_ZN9rocsparseL39bsrgeam_block_per_row_multipass_kernel2ILj256ELj32E21rocsparse_complex_numIfEEEv20rocsparse_direction_iiiNS_24const_host_device_scalarIT1_EEPKiS8_PKS5_S6_S8_S8_SA_S8_PiPS5_21rocsparse_index_base_SD_SD_b, .Lfunc_end23-_ZN9rocsparseL39bsrgeam_block_per_row_multipass_kernel2ILj256ELj32E21rocsparse_complex_numIfEEEv20rocsparse_direction_iiiNS_24const_host_device_scalarIT1_EEPKiS8_PKS5_S6_S8_S8_SA_S8_PiPS5_21rocsparse_index_base_SD_SD_b
                                        ; -- End function
	.set _ZN9rocsparseL39bsrgeam_block_per_row_multipass_kernel2ILj256ELj32E21rocsparse_complex_numIfEEEv20rocsparse_direction_iiiNS_24const_host_device_scalarIT1_EEPKiS8_PKS5_S6_S8_S8_SA_S8_PiPS5_21rocsparse_index_base_SD_SD_b.num_vgpr, 25
	.set _ZN9rocsparseL39bsrgeam_block_per_row_multipass_kernel2ILj256ELj32E21rocsparse_complex_numIfEEEv20rocsparse_direction_iiiNS_24const_host_device_scalarIT1_EEPKiS8_PKS5_S6_S8_S8_SA_S8_PiPS5_21rocsparse_index_base_SD_SD_b.num_agpr, 0
	.set _ZN9rocsparseL39bsrgeam_block_per_row_multipass_kernel2ILj256ELj32E21rocsparse_complex_numIfEEEv20rocsparse_direction_iiiNS_24const_host_device_scalarIT1_EEPKiS8_PKS5_S6_S8_S8_SA_S8_PiPS5_21rocsparse_index_base_SD_SD_b.numbered_sgpr, 52
	.set _ZN9rocsparseL39bsrgeam_block_per_row_multipass_kernel2ILj256ELj32E21rocsparse_complex_numIfEEEv20rocsparse_direction_iiiNS_24const_host_device_scalarIT1_EEPKiS8_PKS5_S6_S8_S8_SA_S8_PiPS5_21rocsparse_index_base_SD_SD_b.num_named_barrier, 0
	.set _ZN9rocsparseL39bsrgeam_block_per_row_multipass_kernel2ILj256ELj32E21rocsparse_complex_numIfEEEv20rocsparse_direction_iiiNS_24const_host_device_scalarIT1_EEPKiS8_PKS5_S6_S8_S8_SA_S8_PiPS5_21rocsparse_index_base_SD_SD_b.private_seg_size, 0
	.set _ZN9rocsparseL39bsrgeam_block_per_row_multipass_kernel2ILj256ELj32E21rocsparse_complex_numIfEEEv20rocsparse_direction_iiiNS_24const_host_device_scalarIT1_EEPKiS8_PKS5_S6_S8_S8_SA_S8_PiPS5_21rocsparse_index_base_SD_SD_b.uses_vcc, 1
	.set _ZN9rocsparseL39bsrgeam_block_per_row_multipass_kernel2ILj256ELj32E21rocsparse_complex_numIfEEEv20rocsparse_direction_iiiNS_24const_host_device_scalarIT1_EEPKiS8_PKS5_S6_S8_S8_SA_S8_PiPS5_21rocsparse_index_base_SD_SD_b.uses_flat_scratch, 0
	.set _ZN9rocsparseL39bsrgeam_block_per_row_multipass_kernel2ILj256ELj32E21rocsparse_complex_numIfEEEv20rocsparse_direction_iiiNS_24const_host_device_scalarIT1_EEPKiS8_PKS5_S6_S8_S8_SA_S8_PiPS5_21rocsparse_index_base_SD_SD_b.has_dyn_sized_stack, 0
	.set _ZN9rocsparseL39bsrgeam_block_per_row_multipass_kernel2ILj256ELj32E21rocsparse_complex_numIfEEEv20rocsparse_direction_iiiNS_24const_host_device_scalarIT1_EEPKiS8_PKS5_S6_S8_S8_SA_S8_PiPS5_21rocsparse_index_base_SD_SD_b.has_recursion, 0
	.set _ZN9rocsparseL39bsrgeam_block_per_row_multipass_kernel2ILj256ELj32E21rocsparse_complex_numIfEEEv20rocsparse_direction_iiiNS_24const_host_device_scalarIT1_EEPKiS8_PKS5_S6_S8_S8_SA_S8_PiPS5_21rocsparse_index_base_SD_SD_b.has_indirect_call, 0
	.section	.AMDGPU.csdata,"",@progbits
; Kernel info:
; codeLenInByte = 3104
; TotalNumSgprs: 56
; NumVgprs: 25
; ScratchSize: 0
; MemoryBound: 0
; FloatMode: 240
; IeeeMode: 1
; LDSByteSize: 8196 bytes/workgroup (compile time only)
; SGPRBlocks: 10
; VGPRBlocks: 8
; NumSGPRsForWavesPerEU: 81
; NumVGPRsForWavesPerEU: 33
; Occupancy: 7
; WaveLimiterHint : 1
; COMPUTE_PGM_RSRC2:SCRATCH_EN: 0
; COMPUTE_PGM_RSRC2:USER_SGPR: 6
; COMPUTE_PGM_RSRC2:TRAP_HANDLER: 0
; COMPUTE_PGM_RSRC2:TGID_X_EN: 1
; COMPUTE_PGM_RSRC2:TGID_Y_EN: 0
; COMPUTE_PGM_RSRC2:TGID_Z_EN: 0
; COMPUTE_PGM_RSRC2:TIDIG_COMP_CNT: 0
	.section	.text._ZN9rocsparseL39bsrgeam_wf_per_row_multipass_2_3_kernelILj256ELj2ELj32E21rocsparse_complex_numIdEEEv20rocsparse_direction_iiiNS_24const_host_device_scalarIT2_EEPKiS8_PKS5_S6_S8_S8_SA_S8_PiPS5_21rocsparse_index_base_SD_SD_b,"axG",@progbits,_ZN9rocsparseL39bsrgeam_wf_per_row_multipass_2_3_kernelILj256ELj2ELj32E21rocsparse_complex_numIdEEEv20rocsparse_direction_iiiNS_24const_host_device_scalarIT2_EEPKiS8_PKS5_S6_S8_S8_SA_S8_PiPS5_21rocsparse_index_base_SD_SD_b,comdat
	.globl	_ZN9rocsparseL39bsrgeam_wf_per_row_multipass_2_3_kernelILj256ELj2ELj32E21rocsparse_complex_numIdEEEv20rocsparse_direction_iiiNS_24const_host_device_scalarIT2_EEPKiS8_PKS5_S6_S8_S8_SA_S8_PiPS5_21rocsparse_index_base_SD_SD_b ; -- Begin function _ZN9rocsparseL39bsrgeam_wf_per_row_multipass_2_3_kernelILj256ELj2ELj32E21rocsparse_complex_numIdEEEv20rocsparse_direction_iiiNS_24const_host_device_scalarIT2_EEPKiS8_PKS5_S6_S8_S8_SA_S8_PiPS5_21rocsparse_index_base_SD_SD_b
	.p2align	8
	.type	_ZN9rocsparseL39bsrgeam_wf_per_row_multipass_2_3_kernelILj256ELj2ELj32E21rocsparse_complex_numIdEEEv20rocsparse_direction_iiiNS_24const_host_device_scalarIT2_EEPKiS8_PKS5_S6_S8_S8_SA_S8_PiPS5_21rocsparse_index_base_SD_SD_b,@function
_ZN9rocsparseL39bsrgeam_wf_per_row_multipass_2_3_kernelILj256ELj2ELj32E21rocsparse_complex_numIdEEEv20rocsparse_direction_iiiNS_24const_host_device_scalarIT2_EEPKiS8_PKS5_S6_S8_S8_SA_S8_PiPS5_21rocsparse_index_base_SD_SD_b: ; @_ZN9rocsparseL39bsrgeam_wf_per_row_multipass_2_3_kernelILj256ELj2ELj32E21rocsparse_complex_numIdEEEv20rocsparse_direction_iiiNS_24const_host_device_scalarIT2_EEPKiS8_PKS5_S6_S8_S8_SA_S8_PiPS5_21rocsparse_index_base_SD_SD_b
; %bb.0:
	s_add_u32 flat_scratch_lo, s6, s9
	s_load_dwordx4 s[12:15], s[4:5], 0x78
	s_load_dwordx4 s[16:19], s[4:5], 0x10
	s_addc_u32 flat_scratch_hi, s7, 0
	s_add_u32 s0, s0, s9
	s_addc_u32 s1, s1, 0
	s_waitcnt lgkmcnt(0)
	s_bitcmp1_b32 s15, 0
	s_cselect_b64 s[6:7], -1, 0
	s_mov_b64 s[10:11], src_private_base
	v_mov_b32_e32 v1, s17
	s_and_b64 vcc, s[6:7], exec
	buffer_store_dword v1, off, s[0:3], 0 offset:4
	v_mov_b32_e32 v1, s16
	s_cselect_b32 s9, s11, s17
	s_cselect_b32 s10, 0, s16
	buffer_store_dword v1, off, s[0:3], 0
	v_mov_b32_e32 v1, s10
	v_mov_b32_e32 v2, s9
	flat_load_dwordx2 v[13:14], v[1:2]
	v_mov_b32_e32 v15, s18
	v_mov_b32_e32 v16, s19
	s_cbranch_vccnz .LBB24_2
; %bb.1:
	v_mov_b32_e32 v1, s16
	v_mov_b32_e32 v2, s17
	flat_load_dwordx2 v[15:16], v[1:2] offset:8
.LBB24_2:
	s_load_dwordx4 s[16:19], s[4:5], 0x0
	s_lshl_b32 s8, s8, 3
	v_lshrrev_b32_e32 v12, 5, v0
	s_and_b32 s8, s8, 0x7fffff8
	v_or_b32_e32 v1, s8, v12
	s_waitcnt lgkmcnt(0)
	v_cmp_gt_i32_e32 vcc, s17, v1
	s_and_saveexec_b64 s[8:9], vcc
	s_cbranch_execz .LBB24_37
; %bb.3:
	s_load_dwordx4 s[8:11], s[4:5], 0x20
	s_load_dwordx2 s[24:25], s[4:5], 0x38
	s_load_dwordx2 s[26:27], s[4:5], 0x60
	s_load_dwordx4 s[20:23], s[4:5], 0x48
	s_add_u32 s15, s4, 56
	s_addc_u32 s17, s5, 0
	s_and_b64 s[6:7], s[6:7], exec
	s_waitcnt lgkmcnt(0)
	s_cselect_b32 s6, s17, s25
	s_cselect_b32 s7, s15, s24
	v_lshlrev_b32_e32 v11, 2, v1
	v_mov_b32_e32 v9, s7
	v_mov_b32_e32 v10, s6
	global_load_dwordx2 v[5:6], v11, s[8:9]
	global_load_dwordx2 v[7:8], v11, s[20:21]
	global_load_dword v17, v11, s[26:27]
	flat_load_dwordx4 v[1:4], v[9:10]
	s_waitcnt vmcnt(0)
	v_subrev_u32_e32 v9, s12, v5
	v_cmp_lt_i32_e32 vcc, v5, v6
	v_mov_b32_e32 v5, s18
	s_and_saveexec_b64 s[6:7], vcc
	s_cbranch_execz .LBB24_5
; %bb.4:
	v_ashrrev_i32_e32 v10, 31, v9
	v_lshlrev_b64 v[10:11], 2, v[9:10]
	v_mov_b32_e32 v5, s11
	v_add_co_u32_e32 v10, vcc, s10, v10
	v_addc_co_u32_e32 v11, vcc, v5, v11, vcc
	global_load_dword v5, v[10:11], off
	s_waitcnt vmcnt(0)
	v_subrev_u32_e32 v5, s12, v5
.LBB24_5:
	s_or_b64 exec, exec, s[6:7]
	s_load_dwordx4 s[24:27], s[4:5], 0x68
	s_load_dwordx2 s[8:9], s[4:5], 0x58
	s_load_dwordx2 s[20:21], s[4:5], 0x30
	v_subrev_u32_e32 v10, s13, v7
	v_cmp_lt_i32_e32 vcc, v7, v8
	v_mov_b32_e32 v7, s18
	s_and_saveexec_b64 s[4:5], vcc
	s_cbranch_execz .LBB24_7
; %bb.6:
	v_ashrrev_i32_e32 v11, 31, v10
	v_lshlrev_b64 v[18:19], 2, v[10:11]
	v_mov_b32_e32 v7, s23
	v_add_co_u32_e32 v18, vcc, s22, v18
	v_addc_co_u32_e32 v19, vcc, v7, v19, vcc
	global_load_dword v7, v[18:19], off
	s_waitcnt vmcnt(0)
	v_subrev_u32_e32 v7, s13, v7
.LBB24_7:
	s_or_b64 exec, exec, s[4:5]
	v_min_i32_e32 v41, v7, v5
	v_mbcnt_lo_u32_b32 v5, -1, 0
	v_subrev_u32_e32 v27, s12, v6
	v_and_b32_e32 v6, 31, v0
	v_mbcnt_hi_u32_b32 v5, -1, v5
	v_subrev_u32_e32 v28, s13, v8
	v_and_b32_e32 v7, 64, v5
	v_xor_b32_e32 v8, 31, v6
	v_add_u32_e32 v7, 64, v7
	v_lshrrev_b32_e64 v30, v8, -1
	v_xor_b32_e32 v8, 16, v5
	v_add_u32_e32 v19, v10, v6
	v_cmp_lt_i32_e32 vcc, v8, v7
	v_xor_b32_e32 v10, 8, v5
	v_cndmask_b32_e32 v8, v5, v8, vcc
	v_cmp_lt_i32_e32 vcc, v10, v7
	v_cndmask_b32_e32 v10, v5, v10, vcc
	v_lshlrev_b32_e32 v34, 2, v10
	v_xor_b32_e32 v10, 4, v5
	v_cmp_lt_i32_e32 vcc, v10, v7
	v_cndmask_b32_e32 v10, v5, v10, vcc
	v_lshlrev_b32_e32 v35, 2, v10
	v_xor_b32_e32 v10, 2, v5
	v_cmp_lt_i32_e32 vcc, v10, v7
	v_cndmask_b32_e32 v10, v5, v10, vcc
	v_lshlrev_b32_e32 v26, 11, v12
	s_cmp_lg_u32 s16, 0
	v_lshlrev_b32_e32 v36, 2, v10
	v_xor_b32_e32 v10, 1, v5
	v_and_b32_e32 v11, 0xe0, v0
	v_lshl_or_b32 v0, v6, 6, v26
	s_mov_b32 s4, 0
	s_cselect_b64 s[28:29], -1, 0
	s_cmp_eq_u32 s16, 0
	v_cmp_lt_i32_e32 vcc, v10, v7
	v_or_b32_e32 v25, 0x4000, v11
	v_subrev_u32_e32 v29, s14, v17
	v_add_u32_e32 v17, v9, v6
	v_lshlrev_b32_e32 v32, 2, v8
	v_or_b32_e32 v8, 16, v0
	v_or_b32_e32 v9, 32, v0
	v_cndmask_b32_e32 v5, v5, v10, vcc
	s_cselect_b64 vcc, -1, 0
	s_mov_b32 s7, s4
	v_add_u32_e32 v31, s14, v6
	v_lshlrev_b32_e32 v37, 2, v5
	v_cndmask_b32_e32 v38, v9, v8, vcc
	v_cndmask_b32_e32 v39, v8, v9, vcc
	v_add_u32_e32 v40, v25, v6
	s_mov_b32 s5, s4
	s_mov_b32 s6, s4
	v_mov_b32_e32 v8, s7
	v_cndmask_b32_e64 v9, 0, 1, s[28:29]
	v_or_b32_e32 v33, 48, v0
	s_mov_b64 s[14:15], 0
	v_mov_b32_e32 v22, 0
	v_mov_b32_e32 v7, s6
	;; [unrolled: 1-line block ×5, first 2 shown]
	v_cmp_ne_u32_e64 s[4:5], 1, v9
	s_branch .LBB24_9
.LBB24_8:                               ;   in Loop: Header=BB24_9 Depth=1
	s_or_b64 exec, exec, s[16:17]
	ds_bpermute_b32 v9, v32, v43
	s_bcnt1_i32_b64 s6, vcc
	v_add_u32_e32 v29, s6, v29
	s_waitcnt lgkmcnt(0)
	v_min_i32_e32 v9, v9, v43
	ds_bpermute_b32 v10, v34, v9
	s_waitcnt lgkmcnt(0)
	v_min_i32_e32 v9, v10, v9
	ds_bpermute_b32 v10, v35, v9
	;; [unrolled: 3-line block ×4, first 2 shown]
	s_waitcnt lgkmcnt(0)
	v_min_i32_e32 v41, v10, v9
	v_cmp_le_i32_e32 vcc, s18, v41
	s_or_b64 s[14:15], vcc, s[14:15]
	s_andn2_b64 exec, exec, s[14:15]
	s_cbranch_execz .LBB24_37
.LBB24_9:                               ; =>This Loop Header: Depth=1
                                        ;     Child Loop BB24_12 Depth 2
                                        ;     Child Loop BB24_25 Depth 2
	v_cmp_lt_i32_e32 vcc, v17, v27
	v_mov_b32_e32 v43, s18
	ds_write_b8 v40, v22
	ds_write_b128 v0, v[5:8]
	ds_write_b128 v0, v[5:8] offset:16
	ds_write_b128 v0, v[5:8] offset:32
	;; [unrolled: 1-line block ×3, first 2 shown]
	s_waitcnt lgkmcnt(0)
	s_and_saveexec_b64 s[16:17], vcc
	s_cbranch_execz .LBB24_22
; %bb.10:                               ;   in Loop: Header=BB24_9 Depth=1
	v_lshlrev_b32_e32 v21, 2, v17
	s_mov_b64 s[28:29], 0
	v_mov_b32_e32 v43, s18
	s_branch .LBB24_12
.LBB24_11:                              ;   in Loop: Header=BB24_12 Depth=2
	s_or_b64 exec, exec, s[34:35]
	s_and_b64 s[6:7], exec, s[30:31]
	s_or_b64 s[28:29], s[6:7], s[28:29]
	s_andn2_b64 exec, exec, s[28:29]
	s_cbranch_execz .LBB24_21
.LBB24_12:                              ;   Parent Loop BB24_9 Depth=1
                                        ; =>  This Inner Loop Header: Depth=2
	v_ashrrev_i32_e32 v18, 31, v17
	v_lshlrev_b64 v[9:10], 2, v[17:18]
	v_mov_b32_e32 v11, s11
	v_add_co_u32_e32 v9, vcc, s10, v9
	v_addc_co_u32_e32 v10, vcc, v11, v10, vcc
	global_load_dword v9, v[9:10], off
	s_waitcnt vmcnt(0)
	v_subrev_u32_e32 v9, s12, v9
	v_sub_u32_e32 v11, v9, v41
	v_cmp_gt_u32_e64 s[6:7], 32, v11
	v_cmp_lt_u32_e32 vcc, 31, v11
	s_and_saveexec_b64 s[30:31], vcc
	s_xor_b64 s[30:31], exec, s[30:31]
; %bb.13:                               ;   in Loop: Header=BB24_12 Depth=2
	v_min_i32_e32 v43, v9, v43
                                        ; implicit-def: $vgpr11
; %bb.14:                               ;   in Loop: Header=BB24_12 Depth=2
	s_andn2_saveexec_b64 s[30:31], s[30:31]
	s_cbranch_execz .LBB24_19
; %bb.15:                               ;   in Loop: Header=BB24_12 Depth=2
	v_lshlrev_b64 v[9:10], 4, v[21:22]
	v_mov_b32_e32 v12, s21
	v_add_co_u32_e32 v9, vcc, s20, v9
	v_addc_co_u32_e32 v10, vcc, v12, v10, vcc
	global_load_dwordx4 v[44:47], v[9:10], off
	v_add_u32_e32 v12, v25, v11
	v_lshlrev_b32_e32 v11, 6, v11
	s_and_b64 vcc, exec, s[4:5]
	v_add_u32_e32 v11, v26, v11
	s_mov_b64 s[34:35], -1
	ds_write_b8 v12, v42
	s_waitcnt vmcnt(0)
	v_mul_f64 v[23:24], v[46:47], -v[15:16]
	v_mul_f64 v[48:49], v[13:14], v[46:47]
	v_fma_f64 v[46:47], v[13:14], v[44:45], v[23:24]
	v_fma_f64 v[48:49], v[15:16], v[44:45], v[48:49]
	ds_write_b128 v11, v[46:49]
	s_cbranch_vccnz .LBB24_17
; %bb.16:                               ;   in Loop: Header=BB24_12 Depth=2
	global_load_dwordx4 v[44:47], v[9:10], off offset:32
	global_load_dwordx4 v[48:51], v[9:10], off offset:16
	;; [unrolled: 1-line block ×3, first 2 shown]
	s_mov_b64 s[34:35], 0
	s_waitcnt vmcnt(2)
	v_mul_f64 v[23:24], v[46:47], -v[15:16]
	v_mul_f64 v[46:47], v[13:14], v[46:47]
	s_waitcnt vmcnt(1)
	v_mul_f64 v[58:59], v[50:51], -v[15:16]
	v_mul_f64 v[50:51], v[13:14], v[50:51]
	s_waitcnt vmcnt(0)
	v_mul_f64 v[60:61], v[54:55], -v[15:16]
	v_mul_f64 v[62:63], v[13:14], v[54:55]
	v_fma_f64 v[54:55], v[13:14], v[44:45], v[23:24]
	v_fma_f64 v[56:57], v[15:16], v[44:45], v[46:47]
	;; [unrolled: 1-line block ×6, first 2 shown]
	ds_write_b128 v11, v[54:57] offset:16
	ds_write_b128 v11, v[44:47] offset:32
	;; [unrolled: 1-line block ×3, first 2 shown]
.LBB24_17:                              ;   in Loop: Header=BB24_12 Depth=2
	s_andn2_b64 vcc, exec, s[34:35]
	s_cbranch_vccnz .LBB24_19
; %bb.18:                               ;   in Loop: Header=BB24_12 Depth=2
	global_load_dwordx4 v[44:47], v[9:10], off offset:16
	global_load_dwordx4 v[48:51], v[9:10], off offset:32
	;; [unrolled: 1-line block ×3, first 2 shown]
	s_waitcnt vmcnt(2)
	v_mul_f64 v[9:10], v[46:47], -v[15:16]
	v_mul_f64 v[23:24], v[13:14], v[46:47]
	s_waitcnt vmcnt(1)
	v_mul_f64 v[46:47], v[50:51], -v[15:16]
	v_mul_f64 v[50:51], v[13:14], v[50:51]
	;; [unrolled: 3-line block ×3, first 2 shown]
	v_fma_f64 v[54:55], v[13:14], v[44:45], v[9:10]
	v_fma_f64 v[56:57], v[15:16], v[44:45], v[23:24]
	;; [unrolled: 1-line block ×6, first 2 shown]
	ds_write_b128 v11, v[54:57] offset:16
	ds_write_b128 v11, v[44:47] offset:32
	;; [unrolled: 1-line block ×3, first 2 shown]
.LBB24_19:                              ;   in Loop: Header=BB24_12 Depth=2
	s_or_b64 exec, exec, s[30:31]
	s_mov_b64 s[30:31], -1
	s_and_saveexec_b64 s[34:35], s[6:7]
	s_cbranch_execz .LBB24_11
; %bb.20:                               ;   in Loop: Header=BB24_12 Depth=2
	v_add_u32_e32 v17, 32, v17
	v_cmp_ge_i32_e32 vcc, v17, v27
	v_add_u32_e32 v21, 0x80, v21
	s_orn2_b64 s[30:31], vcc, exec
	s_branch .LBB24_11
.LBB24_21:                              ;   in Loop: Header=BB24_9 Depth=1
	s_or_b64 exec, exec, s[28:29]
.LBB24_22:                              ;   in Loop: Header=BB24_9 Depth=1
	s_or_b64 exec, exec, s[16:17]
	v_cmp_lt_i32_e32 vcc, v19, v28
	s_waitcnt lgkmcnt(0)
	s_and_saveexec_b64 s[16:17], vcc
	s_cbranch_execz .LBB24_35
; %bb.23:                               ;   in Loop: Header=BB24_9 Depth=1
	v_lshlrev_b32_e32 v21, 2, v19
	s_mov_b64 s[28:29], 0
	s_branch .LBB24_25
.LBB24_24:                              ;   in Loop: Header=BB24_25 Depth=2
	s_or_b64 exec, exec, s[34:35]
	s_and_b64 s[6:7], exec, s[30:31]
	s_or_b64 s[28:29], s[6:7], s[28:29]
	s_andn2_b64 exec, exec, s[28:29]
	s_cbranch_execz .LBB24_34
.LBB24_25:                              ;   Parent Loop BB24_9 Depth=1
                                        ; =>  This Inner Loop Header: Depth=2
	v_ashrrev_i32_e32 v20, 31, v19
	s_waitcnt lgkmcnt(2)
	v_lshlrev_b64 v[9:10], 2, v[19:20]
	v_mov_b32_e32 v11, s23
	v_add_co_u32_e32 v9, vcc, s22, v9
	v_addc_co_u32_e32 v10, vcc, v11, v10, vcc
	global_load_dword v9, v[9:10], off
	s_waitcnt vmcnt(0)
	v_subrev_u32_e32 v9, s13, v9
	v_sub_u32_e32 v20, v9, v41
	v_cmp_gt_u32_e64 s[6:7], 32, v20
	v_cmp_lt_u32_e32 vcc, 31, v20
	s_and_saveexec_b64 s[30:31], vcc
	s_xor_b64 s[30:31], exec, s[30:31]
; %bb.26:                               ;   in Loop: Header=BB24_25 Depth=2
	v_min_i32_e32 v43, v9, v43
                                        ; implicit-def: $vgpr20
; %bb.27:                               ;   in Loop: Header=BB24_25 Depth=2
	s_andn2_saveexec_b64 s[30:31], s[30:31]
	s_cbranch_execz .LBB24_32
; %bb.28:                               ;   in Loop: Header=BB24_25 Depth=2
	v_lshlrev_b64 v[9:10], 4, v[21:22]
	v_mov_b32_e32 v11, s9
	v_add_co_u32_e32 v23, vcc, s8, v9
	v_addc_co_u32_e32 v24, vcc, v11, v10, vcc
	global_load_dwordx4 v[44:47], v[23:24], off
	v_lshlrev_b32_e32 v9, 6, v20
	v_add_u32_e32 v18, v26, v9
	ds_read_b128 v[48:51], v18
	ds_read_b128 v[9:12], v18 offset:16
	v_add_u32_e32 v20, v25, v20
	s_and_b64 vcc, exec, s[4:5]
	s_mov_b64 s[34:35], -1
	s_waitcnt vmcnt(0) lgkmcnt(1)
	v_fma_f64 v[48:49], v[1:2], v[44:45], v[48:49]
	v_fma_f64 v[50:51], v[3:4], v[44:45], v[50:51]
	v_fma_f64 v[44:45], -v[3:4], v[46:47], v[48:49]
	v_fma_f64 v[46:47], v[1:2], v[46:47], v[50:51]
	ds_write_b8 v20, v42
	ds_write_b128 v18, v[44:47]
	s_cbranch_vccnz .LBB24_30
; %bb.29:                               ;   in Loop: Header=BB24_25 Depth=2
	global_load_dwordx4 v[44:47], v[23:24], off offset:32
	global_load_dwordx4 v[48:51], v[23:24], off offset:16
	;; [unrolled: 1-line block ×3, first 2 shown]
	ds_read_b128 v[56:59], v18 offset:32
	ds_read_b128 v[60:63], v18 offset:48
	s_mov_b64 s[34:35], 0
	s_waitcnt vmcnt(2) lgkmcnt(4)
	v_fma_f64 v[64:65], v[1:2], v[44:45], v[9:10]
	v_fma_f64 v[66:67], v[3:4], v[44:45], v[11:12]
	s_waitcnt vmcnt(1) lgkmcnt(1)
	v_fma_f64 v[56:57], v[1:2], v[48:49], v[56:57]
	v_fma_f64 v[58:59], v[3:4], v[48:49], v[58:59]
	;; [unrolled: 3-line block ×3, first 2 shown]
	v_fma_f64 v[44:45], -v[3:4], v[46:47], v[64:65]
	v_fma_f64 v[46:47], v[1:2], v[46:47], v[66:67]
	v_fma_f64 v[48:49], -v[3:4], v[50:51], v[56:57]
	v_fma_f64 v[50:51], v[1:2], v[50:51], v[58:59]
	;; [unrolled: 2-line block ×3, first 2 shown]
	ds_write_b128 v18, v[44:47] offset:16
	ds_write_b128 v18, v[48:51] offset:32
	;; [unrolled: 1-line block ×3, first 2 shown]
.LBB24_30:                              ;   in Loop: Header=BB24_25 Depth=2
	s_andn2_b64 vcc, exec, s[34:35]
	s_cbranch_vccnz .LBB24_32
; %bb.31:                               ;   in Loop: Header=BB24_25 Depth=2
	global_load_dwordx4 v[44:47], v[23:24], off offset:16
	global_load_dwordx4 v[48:51], v[23:24], off offset:32
	;; [unrolled: 1-line block ×3, first 2 shown]
	ds_read_b128 v[56:59], v18 offset:32
	ds_read_b128 v[60:63], v18 offset:48
	s_waitcnt vmcnt(2) lgkmcnt(4)
	v_fma_f64 v[9:10], v[1:2], v[44:45], v[9:10]
	v_fma_f64 v[11:12], v[3:4], v[44:45], v[11:12]
	s_waitcnt vmcnt(1) lgkmcnt(1)
	v_fma_f64 v[23:24], v[1:2], v[48:49], v[56:57]
	v_fma_f64 v[48:49], v[3:4], v[48:49], v[58:59]
	s_waitcnt vmcnt(0) lgkmcnt(0)
	v_fma_f64 v[56:57], v[1:2], v[52:53], v[60:61]
	v_fma_f64 v[52:53], v[3:4], v[52:53], v[62:63]
	v_fma_f64 v[9:10], -v[3:4], v[46:47], v[9:10]
	v_fma_f64 v[11:12], v[1:2], v[46:47], v[11:12]
	v_fma_f64 v[44:45], -v[3:4], v[50:51], v[23:24]
	v_fma_f64 v[46:47], v[1:2], v[50:51], v[48:49]
	;; [unrolled: 2-line block ×3, first 2 shown]
	ds_write_b128 v18, v[9:12] offset:16
	ds_write_b128 v18, v[44:47] offset:32
	ds_write_b128 v18, v[48:51] offset:48
.LBB24_32:                              ;   in Loop: Header=BB24_25 Depth=2
	s_or_b64 exec, exec, s[30:31]
	s_mov_b64 s[30:31], -1
	s_and_saveexec_b64 s[34:35], s[6:7]
	s_cbranch_execz .LBB24_24
; %bb.33:                               ;   in Loop: Header=BB24_25 Depth=2
	v_add_u32_e32 v19, 32, v19
	v_cmp_ge_i32_e32 vcc, v19, v28
	v_add_u32_e32 v21, 0x80, v21
	s_orn2_b64 s[30:31], vcc, exec
	s_branch .LBB24_24
.LBB24_34:                              ;   in Loop: Header=BB24_9 Depth=1
	s_or_b64 exec, exec, s[28:29]
.LBB24_35:                              ;   in Loop: Header=BB24_9 Depth=1
	s_or_b64 exec, exec, s[16:17]
	s_waitcnt lgkmcnt(0)
	ds_read_u8 v9, v40
	s_waitcnt lgkmcnt(0)
	v_and_b32_e32 v10, 1, v9
	v_cmp_eq_u32_e64 s[6:7], 1, v10
	v_cmp_ne_u16_e32 vcc, 0, v9
	s_and_saveexec_b64 s[16:17], s[6:7]
	s_cbranch_execz .LBB24_8
; %bb.36:                               ;   in Loop: Header=BB24_9 Depth=1
	v_and_b32_e32 v9, vcc_lo, v30
	v_bcnt_u32_b32 v9, v9, 0
	v_add3_u32 v9, v29, v9, -1
	v_ashrrev_i32_e32 v10, 31, v9
	v_lshlrev_b64 v[10:11], 2, v[9:10]
	v_mov_b32_e32 v18, s25
	v_add_co_u32_e64 v10, s[6:7], s24, v10
	v_add_u32_e32 v12, v31, v41
	v_addc_co_u32_e64 v11, s[6:7], v18, v11, s[6:7]
	global_store_dword v[10:11], v12, off
	v_lshlrev_b32_e32 v21, 2, v9
	ds_read2_b64 v[9:12], v38 offset1:1
	ds_read2_b64 v[44:47], v39 offset1:1
	;; [unrolled: 1-line block ×4, first 2 shown]
	v_lshlrev_b64 v[20:21], 4, v[21:22]
	v_mov_b32_e32 v18, s27
	v_add_co_u32_e64 v20, s[6:7], s26, v20
	v_addc_co_u32_e64 v21, s[6:7], v18, v21, s[6:7]
	s_waitcnt lgkmcnt(1)
	global_store_dwordx4 v[20:21], v[48:51], off
	global_store_dwordx4 v[20:21], v[9:12], off offset:16
	global_store_dwordx4 v[20:21], v[44:47], off offset:32
	s_waitcnt lgkmcnt(0)
	global_store_dwordx4 v[20:21], v[52:55], off offset:48
	s_branch .LBB24_8
.LBB24_37:
	s_endpgm
	.section	.rodata,"a",@progbits
	.p2align	6, 0x0
	.amdhsa_kernel _ZN9rocsparseL39bsrgeam_wf_per_row_multipass_2_3_kernelILj256ELj2ELj32E21rocsparse_complex_numIdEEEv20rocsparse_direction_iiiNS_24const_host_device_scalarIT2_EEPKiS8_PKS5_S6_S8_S8_SA_S8_PiPS5_21rocsparse_index_base_SD_SD_b
		.amdhsa_group_segment_fixed_size 16640
		.amdhsa_private_segment_fixed_size 16
		.amdhsa_kernarg_size 136
		.amdhsa_user_sgpr_count 8
		.amdhsa_user_sgpr_private_segment_buffer 1
		.amdhsa_user_sgpr_dispatch_ptr 0
		.amdhsa_user_sgpr_queue_ptr 0
		.amdhsa_user_sgpr_kernarg_segment_ptr 1
		.amdhsa_user_sgpr_dispatch_id 0
		.amdhsa_user_sgpr_flat_scratch_init 1
		.amdhsa_user_sgpr_private_segment_size 0
		.amdhsa_uses_dynamic_stack 0
		.amdhsa_system_sgpr_private_segment_wavefront_offset 1
		.amdhsa_system_sgpr_workgroup_id_x 1
		.amdhsa_system_sgpr_workgroup_id_y 0
		.amdhsa_system_sgpr_workgroup_id_z 0
		.amdhsa_system_sgpr_workgroup_info 0
		.amdhsa_system_vgpr_workitem_id 0
		.amdhsa_next_free_vgpr 68
		.amdhsa_next_free_sgpr 96
		.amdhsa_reserve_vcc 1
		.amdhsa_reserve_flat_scratch 1
		.amdhsa_float_round_mode_32 0
		.amdhsa_float_round_mode_16_64 0
		.amdhsa_float_denorm_mode_32 3
		.amdhsa_float_denorm_mode_16_64 3
		.amdhsa_dx10_clamp 1
		.amdhsa_ieee_mode 1
		.amdhsa_fp16_overflow 0
		.amdhsa_exception_fp_ieee_invalid_op 0
		.amdhsa_exception_fp_denorm_src 0
		.amdhsa_exception_fp_ieee_div_zero 0
		.amdhsa_exception_fp_ieee_overflow 0
		.amdhsa_exception_fp_ieee_underflow 0
		.amdhsa_exception_fp_ieee_inexact 0
		.amdhsa_exception_int_div_zero 0
	.end_amdhsa_kernel
	.section	.text._ZN9rocsparseL39bsrgeam_wf_per_row_multipass_2_3_kernelILj256ELj2ELj32E21rocsparse_complex_numIdEEEv20rocsparse_direction_iiiNS_24const_host_device_scalarIT2_EEPKiS8_PKS5_S6_S8_S8_SA_S8_PiPS5_21rocsparse_index_base_SD_SD_b,"axG",@progbits,_ZN9rocsparseL39bsrgeam_wf_per_row_multipass_2_3_kernelILj256ELj2ELj32E21rocsparse_complex_numIdEEEv20rocsparse_direction_iiiNS_24const_host_device_scalarIT2_EEPKiS8_PKS5_S6_S8_S8_SA_S8_PiPS5_21rocsparse_index_base_SD_SD_b,comdat
.Lfunc_end24:
	.size	_ZN9rocsparseL39bsrgeam_wf_per_row_multipass_2_3_kernelILj256ELj2ELj32E21rocsparse_complex_numIdEEEv20rocsparse_direction_iiiNS_24const_host_device_scalarIT2_EEPKiS8_PKS5_S6_S8_S8_SA_S8_PiPS5_21rocsparse_index_base_SD_SD_b, .Lfunc_end24-_ZN9rocsparseL39bsrgeam_wf_per_row_multipass_2_3_kernelILj256ELj2ELj32E21rocsparse_complex_numIdEEEv20rocsparse_direction_iiiNS_24const_host_device_scalarIT2_EEPKiS8_PKS5_S6_S8_S8_SA_S8_PiPS5_21rocsparse_index_base_SD_SD_b
                                        ; -- End function
	.set _ZN9rocsparseL39bsrgeam_wf_per_row_multipass_2_3_kernelILj256ELj2ELj32E21rocsparse_complex_numIdEEEv20rocsparse_direction_iiiNS_24const_host_device_scalarIT2_EEPKiS8_PKS5_S6_S8_S8_SA_S8_PiPS5_21rocsparse_index_base_SD_SD_b.num_vgpr, 68
	.set _ZN9rocsparseL39bsrgeam_wf_per_row_multipass_2_3_kernelILj256ELj2ELj32E21rocsparse_complex_numIdEEEv20rocsparse_direction_iiiNS_24const_host_device_scalarIT2_EEPKiS8_PKS5_S6_S8_S8_SA_S8_PiPS5_21rocsparse_index_base_SD_SD_b.num_agpr, 0
	.set _ZN9rocsparseL39bsrgeam_wf_per_row_multipass_2_3_kernelILj256ELj2ELj32E21rocsparse_complex_numIdEEEv20rocsparse_direction_iiiNS_24const_host_device_scalarIT2_EEPKiS8_PKS5_S6_S8_S8_SA_S8_PiPS5_21rocsparse_index_base_SD_SD_b.numbered_sgpr, 36
	.set _ZN9rocsparseL39bsrgeam_wf_per_row_multipass_2_3_kernelILj256ELj2ELj32E21rocsparse_complex_numIdEEEv20rocsparse_direction_iiiNS_24const_host_device_scalarIT2_EEPKiS8_PKS5_S6_S8_S8_SA_S8_PiPS5_21rocsparse_index_base_SD_SD_b.num_named_barrier, 0
	.set _ZN9rocsparseL39bsrgeam_wf_per_row_multipass_2_3_kernelILj256ELj2ELj32E21rocsparse_complex_numIdEEEv20rocsparse_direction_iiiNS_24const_host_device_scalarIT2_EEPKiS8_PKS5_S6_S8_S8_SA_S8_PiPS5_21rocsparse_index_base_SD_SD_b.private_seg_size, 16
	.set _ZN9rocsparseL39bsrgeam_wf_per_row_multipass_2_3_kernelILj256ELj2ELj32E21rocsparse_complex_numIdEEEv20rocsparse_direction_iiiNS_24const_host_device_scalarIT2_EEPKiS8_PKS5_S6_S8_S8_SA_S8_PiPS5_21rocsparse_index_base_SD_SD_b.uses_vcc, 1
	.set _ZN9rocsparseL39bsrgeam_wf_per_row_multipass_2_3_kernelILj256ELj2ELj32E21rocsparse_complex_numIdEEEv20rocsparse_direction_iiiNS_24const_host_device_scalarIT2_EEPKiS8_PKS5_S6_S8_S8_SA_S8_PiPS5_21rocsparse_index_base_SD_SD_b.uses_flat_scratch, 1
	.set _ZN9rocsparseL39bsrgeam_wf_per_row_multipass_2_3_kernelILj256ELj2ELj32E21rocsparse_complex_numIdEEEv20rocsparse_direction_iiiNS_24const_host_device_scalarIT2_EEPKiS8_PKS5_S6_S8_S8_SA_S8_PiPS5_21rocsparse_index_base_SD_SD_b.has_dyn_sized_stack, 0
	.set _ZN9rocsparseL39bsrgeam_wf_per_row_multipass_2_3_kernelILj256ELj2ELj32E21rocsparse_complex_numIdEEEv20rocsparse_direction_iiiNS_24const_host_device_scalarIT2_EEPKiS8_PKS5_S6_S8_S8_SA_S8_PiPS5_21rocsparse_index_base_SD_SD_b.has_recursion, 0
	.set _ZN9rocsparseL39bsrgeam_wf_per_row_multipass_2_3_kernelILj256ELj2ELj32E21rocsparse_complex_numIdEEEv20rocsparse_direction_iiiNS_24const_host_device_scalarIT2_EEPKiS8_PKS5_S6_S8_S8_SA_S8_PiPS5_21rocsparse_index_base_SD_SD_b.has_indirect_call, 0
	.section	.AMDGPU.csdata,"",@progbits
; Kernel info:
; codeLenInByte = 2332
; TotalNumSgprs: 42
; NumVgprs: 68
; ScratchSize: 16
; MemoryBound: 0
; FloatMode: 240
; IeeeMode: 1
; LDSByteSize: 16640 bytes/workgroup (compile time only)
; SGPRBlocks: 12
; VGPRBlocks: 16
; NumSGPRsForWavesPerEU: 102
; NumVGPRsForWavesPerEU: 68
; Occupancy: 3
; WaveLimiterHint : 1
; COMPUTE_PGM_RSRC2:SCRATCH_EN: 1
; COMPUTE_PGM_RSRC2:USER_SGPR: 8
; COMPUTE_PGM_RSRC2:TRAP_HANDLER: 0
; COMPUTE_PGM_RSRC2:TGID_X_EN: 1
; COMPUTE_PGM_RSRC2:TGID_Y_EN: 0
; COMPUTE_PGM_RSRC2:TGID_Z_EN: 0
; COMPUTE_PGM_RSRC2:TIDIG_COMP_CNT: 0
	.section	.text._ZN9rocsparseL39bsrgeam_wf_per_row_multipass_2_3_kernelILj256ELj2ELj64E21rocsparse_complex_numIdEEEv20rocsparse_direction_iiiNS_24const_host_device_scalarIT2_EEPKiS8_PKS5_S6_S8_S8_SA_S8_PiPS5_21rocsparse_index_base_SD_SD_b,"axG",@progbits,_ZN9rocsparseL39bsrgeam_wf_per_row_multipass_2_3_kernelILj256ELj2ELj64E21rocsparse_complex_numIdEEEv20rocsparse_direction_iiiNS_24const_host_device_scalarIT2_EEPKiS8_PKS5_S6_S8_S8_SA_S8_PiPS5_21rocsparse_index_base_SD_SD_b,comdat
	.globl	_ZN9rocsparseL39bsrgeam_wf_per_row_multipass_2_3_kernelILj256ELj2ELj64E21rocsparse_complex_numIdEEEv20rocsparse_direction_iiiNS_24const_host_device_scalarIT2_EEPKiS8_PKS5_S6_S8_S8_SA_S8_PiPS5_21rocsparse_index_base_SD_SD_b ; -- Begin function _ZN9rocsparseL39bsrgeam_wf_per_row_multipass_2_3_kernelILj256ELj2ELj64E21rocsparse_complex_numIdEEEv20rocsparse_direction_iiiNS_24const_host_device_scalarIT2_EEPKiS8_PKS5_S6_S8_S8_SA_S8_PiPS5_21rocsparse_index_base_SD_SD_b
	.p2align	8
	.type	_ZN9rocsparseL39bsrgeam_wf_per_row_multipass_2_3_kernelILj256ELj2ELj64E21rocsparse_complex_numIdEEEv20rocsparse_direction_iiiNS_24const_host_device_scalarIT2_EEPKiS8_PKS5_S6_S8_S8_SA_S8_PiPS5_21rocsparse_index_base_SD_SD_b,@function
_ZN9rocsparseL39bsrgeam_wf_per_row_multipass_2_3_kernelILj256ELj2ELj64E21rocsparse_complex_numIdEEEv20rocsparse_direction_iiiNS_24const_host_device_scalarIT2_EEPKiS8_PKS5_S6_S8_S8_SA_S8_PiPS5_21rocsparse_index_base_SD_SD_b: ; @_ZN9rocsparseL39bsrgeam_wf_per_row_multipass_2_3_kernelILj256ELj2ELj64E21rocsparse_complex_numIdEEEv20rocsparse_direction_iiiNS_24const_host_device_scalarIT2_EEPKiS8_PKS5_S6_S8_S8_SA_S8_PiPS5_21rocsparse_index_base_SD_SD_b
; %bb.0:
	s_add_u32 flat_scratch_lo, s6, s9
	s_load_dwordx4 s[12:15], s[4:5], 0x78
	s_load_dwordx4 s[16:19], s[4:5], 0x10
	s_addc_u32 flat_scratch_hi, s7, 0
	s_add_u32 s0, s0, s9
	s_addc_u32 s1, s1, 0
	s_waitcnt lgkmcnt(0)
	s_bitcmp1_b32 s15, 0
	s_cselect_b64 s[6:7], -1, 0
	s_mov_b64 s[10:11], src_private_base
	v_mov_b32_e32 v1, s17
	s_and_b64 vcc, s[6:7], exec
	buffer_store_dword v1, off, s[0:3], 0 offset:4
	v_mov_b32_e32 v1, s16
	s_cselect_b32 s9, s11, s17
	s_cselect_b32 s10, 0, s16
	buffer_store_dword v1, off, s[0:3], 0
	v_mov_b32_e32 v1, s10
	v_mov_b32_e32 v2, s9
	flat_load_dwordx2 v[13:14], v[1:2]
	v_mov_b32_e32 v15, s18
	v_mov_b32_e32 v16, s19
	s_cbranch_vccnz .LBB25_2
; %bb.1:
	v_mov_b32_e32 v1, s16
	v_mov_b32_e32 v2, s17
	flat_load_dwordx2 v[15:16], v[1:2] offset:8
.LBB25_2:
	s_load_dwordx4 s[16:19], s[4:5], 0x0
	s_lshl_b32 s8, s8, 2
	v_lshrrev_b32_e32 v12, 6, v0
	s_and_b32 s8, s8, 0x3fffffc
	v_or_b32_e32 v1, s8, v12
	s_waitcnt lgkmcnt(0)
	v_cmp_gt_i32_e32 vcc, s17, v1
	s_and_saveexec_b64 s[8:9], vcc
	s_cbranch_execz .LBB25_37
; %bb.3:
	s_load_dwordx4 s[8:11], s[4:5], 0x20
	s_load_dwordx2 s[24:25], s[4:5], 0x38
	s_load_dwordx2 s[26:27], s[4:5], 0x60
	s_load_dwordx4 s[20:23], s[4:5], 0x48
	s_add_u32 s15, s4, 56
	s_addc_u32 s17, s5, 0
	s_and_b64 s[6:7], s[6:7], exec
	s_waitcnt lgkmcnt(0)
	s_cselect_b32 s6, s17, s25
	s_cselect_b32 s7, s15, s24
	v_lshlrev_b32_e32 v11, 2, v1
	v_mov_b32_e32 v9, s7
	v_mov_b32_e32 v10, s6
	global_load_dwordx2 v[5:6], v11, s[8:9]
	global_load_dwordx2 v[7:8], v11, s[20:21]
	global_load_dword v17, v11, s[26:27]
	flat_load_dwordx4 v[1:4], v[9:10]
	s_waitcnt vmcnt(0)
	v_subrev_u32_e32 v9, s12, v5
	v_cmp_lt_i32_e32 vcc, v5, v6
	v_mov_b32_e32 v5, s18
	s_and_saveexec_b64 s[6:7], vcc
	s_cbranch_execz .LBB25_5
; %bb.4:
	v_ashrrev_i32_e32 v10, 31, v9
	v_lshlrev_b64 v[10:11], 2, v[9:10]
	v_mov_b32_e32 v5, s11
	v_add_co_u32_e32 v10, vcc, s10, v10
	v_addc_co_u32_e32 v11, vcc, v5, v11, vcc
	global_load_dword v5, v[10:11], off
	s_waitcnt vmcnt(0)
	v_subrev_u32_e32 v5, s12, v5
.LBB25_5:
	s_or_b64 exec, exec, s[6:7]
	s_load_dwordx4 s[24:27], s[4:5], 0x68
	s_load_dwordx2 s[8:9], s[4:5], 0x58
	s_load_dwordx2 s[20:21], s[4:5], 0x30
	v_subrev_u32_e32 v10, s13, v7
	v_cmp_lt_i32_e32 vcc, v7, v8
	v_mov_b32_e32 v7, s18
	s_and_saveexec_b64 s[4:5], vcc
	s_cbranch_execz .LBB25_7
; %bb.6:
	v_ashrrev_i32_e32 v11, 31, v10
	v_lshlrev_b64 v[18:19], 2, v[10:11]
	v_mov_b32_e32 v7, s23
	v_add_co_u32_e32 v18, vcc, s22, v18
	v_addc_co_u32_e32 v19, vcc, v7, v19, vcc
	global_load_dword v7, v[18:19], off
	s_waitcnt vmcnt(0)
	v_subrev_u32_e32 v7, s13, v7
.LBB25_7:
	s_or_b64 exec, exec, s[4:5]
	v_min_i32_e32 v43, v7, v5
	v_mbcnt_lo_u32_b32 v5, -1, 0
	v_subrev_u32_e32 v29, s12, v6
	v_and_b32_e32 v6, 63, v0
	v_mbcnt_hi_u32_b32 v5, -1, v5
	v_subrev_u32_e32 v30, s13, v8
	v_and_b32_e32 v7, 64, v5
	v_xor_b32_e32 v8, 63, v6
	v_add_u32_e32 v7, 64, v7
	v_lshrrev_b64 v[21:22], v8, -1
	v_xor_b32_e32 v8, 32, v5
	v_add_u32_e32 v19, v10, v6
	v_cmp_lt_i32_e32 vcc, v8, v7
	v_xor_b32_e32 v10, 16, v5
	v_cndmask_b32_e32 v8, v5, v8, vcc
	v_cmp_lt_i32_e32 vcc, v10, v7
	v_cndmask_b32_e32 v10, v5, v10, vcc
	v_lshlrev_b32_e32 v35, 2, v10
	v_xor_b32_e32 v10, 8, v5
	v_cmp_lt_i32_e32 vcc, v10, v7
	v_cndmask_b32_e32 v10, v5, v10, vcc
	v_lshlrev_b32_e32 v36, 2, v10
	v_xor_b32_e32 v10, 4, v5
	;; [unrolled: 4-line block ×3, first 2 shown]
	v_cmp_lt_i32_e32 vcc, v10, v7
	v_cndmask_b32_e32 v10, v5, v10, vcc
	v_lshlrev_b32_e32 v28, 12, v12
	s_cmp_lg_u32 s16, 0
	v_lshlrev_b32_e32 v38, 2, v10
	v_xor_b32_e32 v10, 1, v5
	v_and_b32_e32 v11, 0xc0, v0
	v_lshl_or_b32 v0, v6, 6, v28
	s_mov_b32 s4, 0
	s_cselect_b64 s[28:29], -1, 0
	s_cmp_eq_u32 s16, 0
	v_cmp_lt_i32_e32 vcc, v10, v7
	v_or_b32_e32 v27, 0x4000, v11
	v_subrev_u32_e32 v31, s14, v17
	v_add_u32_e32 v17, v9, v6
	v_lshlrev_b32_e32 v33, 2, v8
	v_or_b32_e32 v8, 16, v0
	v_or_b32_e32 v9, 32, v0
	v_cndmask_b32_e32 v5, v5, v10, vcc
	s_cselect_b64 vcc, -1, 0
	s_mov_b32 s7, s4
	v_add_u32_e32 v32, s14, v6
	v_lshlrev_b32_e32 v39, 2, v5
	v_cndmask_b32_e32 v40, v9, v8, vcc
	v_cndmask_b32_e32 v41, v8, v9, vcc
	v_add_u32_e32 v42, v27, v6
	s_mov_b32 s5, s4
	s_mov_b32 s6, s4
	v_mov_b32_e32 v8, s7
	v_cndmask_b32_e64 v9, 0, 1, s[28:29]
	v_or_b32_e32 v34, 48, v0
	s_mov_b64 s[14:15], 0
	v_mov_b32_e32 v24, 0
	v_mov_b32_e32 v7, s6
	;; [unrolled: 1-line block ×5, first 2 shown]
	v_cmp_ne_u32_e64 s[4:5], 1, v9
	s_branch .LBB25_9
.LBB25_8:                               ;   in Loop: Header=BB25_9 Depth=1
	s_or_b64 exec, exec, s[16:17]
	ds_bpermute_b32 v9, v33, v45
	s_bcnt1_i32_b64 s6, vcc
	v_add_u32_e32 v31, s6, v31
	s_waitcnt lgkmcnt(0)
	v_min_i32_e32 v9, v9, v45
	ds_bpermute_b32 v10, v35, v9
	s_waitcnt lgkmcnt(0)
	v_min_i32_e32 v9, v10, v9
	ds_bpermute_b32 v10, v36, v9
	;; [unrolled: 3-line block ×5, first 2 shown]
	s_waitcnt lgkmcnt(0)
	v_min_i32_e32 v43, v10, v9
	v_cmp_le_i32_e32 vcc, s18, v43
	s_or_b64 s[14:15], vcc, s[14:15]
	s_andn2_b64 exec, exec, s[14:15]
	s_cbranch_execz .LBB25_37
.LBB25_9:                               ; =>This Loop Header: Depth=1
                                        ;     Child Loop BB25_12 Depth 2
                                        ;     Child Loop BB25_25 Depth 2
	v_cmp_lt_i32_e32 vcc, v17, v29
	v_mov_b32_e32 v45, s18
	ds_write_b8 v42, v24
	ds_write_b128 v0, v[5:8]
	ds_write_b128 v0, v[5:8] offset:16
	ds_write_b128 v0, v[5:8] offset:32
	;; [unrolled: 1-line block ×3, first 2 shown]
	s_waitcnt lgkmcnt(0)
	s_and_saveexec_b64 s[16:17], vcc
	s_cbranch_execz .LBB25_22
; %bb.10:                               ;   in Loop: Header=BB25_9 Depth=1
	v_lshlrev_b32_e32 v23, 2, v17
	s_mov_b64 s[28:29], 0
	v_mov_b32_e32 v45, s18
	s_branch .LBB25_12
.LBB25_11:                              ;   in Loop: Header=BB25_12 Depth=2
	s_or_b64 exec, exec, s[34:35]
	s_and_b64 s[6:7], exec, s[30:31]
	s_or_b64 s[28:29], s[6:7], s[28:29]
	s_andn2_b64 exec, exec, s[28:29]
	s_cbranch_execz .LBB25_21
.LBB25_12:                              ;   Parent Loop BB25_9 Depth=1
                                        ; =>  This Inner Loop Header: Depth=2
	v_ashrrev_i32_e32 v18, 31, v17
	v_lshlrev_b64 v[9:10], 2, v[17:18]
	v_mov_b32_e32 v11, s11
	v_add_co_u32_e32 v9, vcc, s10, v9
	v_addc_co_u32_e32 v10, vcc, v11, v10, vcc
	global_load_dword v9, v[9:10], off
	s_waitcnt vmcnt(0)
	v_subrev_u32_e32 v9, s12, v9
	v_sub_u32_e32 v11, v9, v43
	v_cmp_gt_u32_e64 s[6:7], 64, v11
	v_cmp_lt_u32_e32 vcc, 63, v11
	s_and_saveexec_b64 s[30:31], vcc
	s_xor_b64 s[30:31], exec, s[30:31]
; %bb.13:                               ;   in Loop: Header=BB25_12 Depth=2
	v_min_i32_e32 v45, v9, v45
                                        ; implicit-def: $vgpr11
; %bb.14:                               ;   in Loop: Header=BB25_12 Depth=2
	s_andn2_saveexec_b64 s[30:31], s[30:31]
	s_cbranch_execz .LBB25_19
; %bb.15:                               ;   in Loop: Header=BB25_12 Depth=2
	v_lshlrev_b64 v[9:10], 4, v[23:24]
	v_mov_b32_e32 v12, s21
	v_add_co_u32_e32 v9, vcc, s20, v9
	v_addc_co_u32_e32 v10, vcc, v12, v10, vcc
	global_load_dwordx4 v[46:49], v[9:10], off
	v_add_u32_e32 v12, v27, v11
	v_lshlrev_b32_e32 v11, 6, v11
	s_and_b64 vcc, exec, s[4:5]
	v_add_u32_e32 v11, v28, v11
	s_mov_b64 s[34:35], -1
	ds_write_b8 v12, v44
	s_waitcnt vmcnt(0)
	v_mul_f64 v[25:26], v[48:49], -v[15:16]
	v_mul_f64 v[50:51], v[13:14], v[48:49]
	v_fma_f64 v[48:49], v[13:14], v[46:47], v[25:26]
	v_fma_f64 v[50:51], v[15:16], v[46:47], v[50:51]
	ds_write_b128 v11, v[48:51]
	s_cbranch_vccnz .LBB25_17
; %bb.16:                               ;   in Loop: Header=BB25_12 Depth=2
	global_load_dwordx4 v[46:49], v[9:10], off offset:32
	global_load_dwordx4 v[50:53], v[9:10], off offset:16
	;; [unrolled: 1-line block ×3, first 2 shown]
	s_mov_b64 s[34:35], 0
	s_waitcnt vmcnt(2)
	v_mul_f64 v[25:26], v[48:49], -v[15:16]
	v_mul_f64 v[48:49], v[13:14], v[48:49]
	s_waitcnt vmcnt(1)
	v_mul_f64 v[60:61], v[52:53], -v[15:16]
	v_mul_f64 v[52:53], v[13:14], v[52:53]
	;; [unrolled: 3-line block ×3, first 2 shown]
	v_fma_f64 v[56:57], v[13:14], v[46:47], v[25:26]
	v_fma_f64 v[58:59], v[15:16], v[46:47], v[48:49]
	;; [unrolled: 1-line block ×6, first 2 shown]
	ds_write_b128 v11, v[56:59] offset:16
	ds_write_b128 v11, v[46:49] offset:32
	;; [unrolled: 1-line block ×3, first 2 shown]
.LBB25_17:                              ;   in Loop: Header=BB25_12 Depth=2
	s_andn2_b64 vcc, exec, s[34:35]
	s_cbranch_vccnz .LBB25_19
; %bb.18:                               ;   in Loop: Header=BB25_12 Depth=2
	global_load_dwordx4 v[46:49], v[9:10], off offset:16
	global_load_dwordx4 v[50:53], v[9:10], off offset:32
	global_load_dwordx4 v[54:57], v[9:10], off offset:48
	s_waitcnt vmcnt(2)
	v_mul_f64 v[9:10], v[48:49], -v[15:16]
	v_mul_f64 v[25:26], v[13:14], v[48:49]
	s_waitcnt vmcnt(1)
	v_mul_f64 v[48:49], v[52:53], -v[15:16]
	v_mul_f64 v[52:53], v[13:14], v[52:53]
	;; [unrolled: 3-line block ×3, first 2 shown]
	v_fma_f64 v[56:57], v[13:14], v[46:47], v[9:10]
	v_fma_f64 v[58:59], v[15:16], v[46:47], v[25:26]
	;; [unrolled: 1-line block ×6, first 2 shown]
	ds_write_b128 v11, v[56:59] offset:16
	ds_write_b128 v11, v[46:49] offset:32
	;; [unrolled: 1-line block ×3, first 2 shown]
.LBB25_19:                              ;   in Loop: Header=BB25_12 Depth=2
	s_or_b64 exec, exec, s[30:31]
	s_mov_b64 s[30:31], -1
	s_and_saveexec_b64 s[34:35], s[6:7]
	s_cbranch_execz .LBB25_11
; %bb.20:                               ;   in Loop: Header=BB25_12 Depth=2
	v_add_u32_e32 v17, 64, v17
	v_cmp_ge_i32_e32 vcc, v17, v29
	v_add_u32_e32 v23, 0x100, v23
	s_orn2_b64 s[30:31], vcc, exec
	s_branch .LBB25_11
.LBB25_21:                              ;   in Loop: Header=BB25_9 Depth=1
	s_or_b64 exec, exec, s[28:29]
.LBB25_22:                              ;   in Loop: Header=BB25_9 Depth=1
	s_or_b64 exec, exec, s[16:17]
	v_cmp_lt_i32_e32 vcc, v19, v30
	s_waitcnt lgkmcnt(0)
	s_and_saveexec_b64 s[16:17], vcc
	s_cbranch_execz .LBB25_35
; %bb.23:                               ;   in Loop: Header=BB25_9 Depth=1
	v_lshlrev_b32_e32 v23, 2, v19
	s_mov_b64 s[28:29], 0
	s_branch .LBB25_25
.LBB25_24:                              ;   in Loop: Header=BB25_25 Depth=2
	s_or_b64 exec, exec, s[34:35]
	s_and_b64 s[6:7], exec, s[30:31]
	s_or_b64 s[28:29], s[6:7], s[28:29]
	s_andn2_b64 exec, exec, s[28:29]
	s_cbranch_execz .LBB25_34
.LBB25_25:                              ;   Parent Loop BB25_9 Depth=1
                                        ; =>  This Inner Loop Header: Depth=2
	v_ashrrev_i32_e32 v20, 31, v19
	s_waitcnt lgkmcnt(2)
	v_lshlrev_b64 v[9:10], 2, v[19:20]
	v_mov_b32_e32 v11, s23
	v_add_co_u32_e32 v9, vcc, s22, v9
	v_addc_co_u32_e32 v10, vcc, v11, v10, vcc
	global_load_dword v9, v[9:10], off
	s_waitcnt vmcnt(0)
	v_subrev_u32_e32 v9, s13, v9
	v_sub_u32_e32 v20, v9, v43
	v_cmp_gt_u32_e64 s[6:7], 64, v20
	v_cmp_lt_u32_e32 vcc, 63, v20
	s_and_saveexec_b64 s[30:31], vcc
	s_xor_b64 s[30:31], exec, s[30:31]
; %bb.26:                               ;   in Loop: Header=BB25_25 Depth=2
	v_min_i32_e32 v45, v9, v45
                                        ; implicit-def: $vgpr20
; %bb.27:                               ;   in Loop: Header=BB25_25 Depth=2
	s_andn2_saveexec_b64 s[30:31], s[30:31]
	s_cbranch_execz .LBB25_32
; %bb.28:                               ;   in Loop: Header=BB25_25 Depth=2
	v_lshlrev_b64 v[9:10], 4, v[23:24]
	v_mov_b32_e32 v11, s9
	v_add_co_u32_e32 v25, vcc, s8, v9
	v_addc_co_u32_e32 v26, vcc, v11, v10, vcc
	global_load_dwordx4 v[46:49], v[25:26], off
	v_lshlrev_b32_e32 v9, 6, v20
	v_add_u32_e32 v18, v28, v9
	ds_read_b128 v[50:53], v18
	ds_read_b128 v[9:12], v18 offset:16
	v_add_u32_e32 v20, v27, v20
	s_and_b64 vcc, exec, s[4:5]
	s_mov_b64 s[34:35], -1
	s_waitcnt vmcnt(0) lgkmcnt(1)
	v_fma_f64 v[50:51], v[1:2], v[46:47], v[50:51]
	v_fma_f64 v[52:53], v[3:4], v[46:47], v[52:53]
	v_fma_f64 v[46:47], -v[3:4], v[48:49], v[50:51]
	v_fma_f64 v[48:49], v[1:2], v[48:49], v[52:53]
	ds_write_b8 v20, v44
	ds_write_b128 v18, v[46:49]
	s_cbranch_vccnz .LBB25_30
; %bb.29:                               ;   in Loop: Header=BB25_25 Depth=2
	global_load_dwordx4 v[46:49], v[25:26], off offset:32
	global_load_dwordx4 v[50:53], v[25:26], off offset:16
	;; [unrolled: 1-line block ×3, first 2 shown]
	ds_read_b128 v[58:61], v18 offset:32
	ds_read_b128 v[62:65], v18 offset:48
	s_mov_b64 s[34:35], 0
	s_waitcnt vmcnt(2) lgkmcnt(4)
	v_fma_f64 v[66:67], v[1:2], v[46:47], v[9:10]
	v_fma_f64 v[68:69], v[3:4], v[46:47], v[11:12]
	s_waitcnt vmcnt(1) lgkmcnt(1)
	v_fma_f64 v[58:59], v[1:2], v[50:51], v[58:59]
	v_fma_f64 v[60:61], v[3:4], v[50:51], v[60:61]
	;; [unrolled: 3-line block ×3, first 2 shown]
	v_fma_f64 v[46:47], -v[3:4], v[48:49], v[66:67]
	v_fma_f64 v[48:49], v[1:2], v[48:49], v[68:69]
	v_fma_f64 v[50:51], -v[3:4], v[52:53], v[58:59]
	v_fma_f64 v[52:53], v[1:2], v[52:53], v[60:61]
	;; [unrolled: 2-line block ×3, first 2 shown]
	ds_write_b128 v18, v[46:49] offset:16
	ds_write_b128 v18, v[50:53] offset:32
	;; [unrolled: 1-line block ×3, first 2 shown]
.LBB25_30:                              ;   in Loop: Header=BB25_25 Depth=2
	s_andn2_b64 vcc, exec, s[34:35]
	s_cbranch_vccnz .LBB25_32
; %bb.31:                               ;   in Loop: Header=BB25_25 Depth=2
	global_load_dwordx4 v[46:49], v[25:26], off offset:16
	global_load_dwordx4 v[50:53], v[25:26], off offset:32
	;; [unrolled: 1-line block ×3, first 2 shown]
	ds_read_b128 v[58:61], v18 offset:32
	ds_read_b128 v[62:65], v18 offset:48
	s_waitcnt vmcnt(2) lgkmcnt(4)
	v_fma_f64 v[9:10], v[1:2], v[46:47], v[9:10]
	v_fma_f64 v[11:12], v[3:4], v[46:47], v[11:12]
	s_waitcnt vmcnt(1) lgkmcnt(1)
	v_fma_f64 v[25:26], v[1:2], v[50:51], v[58:59]
	v_fma_f64 v[50:51], v[3:4], v[50:51], v[60:61]
	;; [unrolled: 3-line block ×3, first 2 shown]
	v_fma_f64 v[9:10], -v[3:4], v[48:49], v[9:10]
	v_fma_f64 v[11:12], v[1:2], v[48:49], v[11:12]
	v_fma_f64 v[46:47], -v[3:4], v[52:53], v[25:26]
	v_fma_f64 v[48:49], v[1:2], v[52:53], v[50:51]
	;; [unrolled: 2-line block ×3, first 2 shown]
	ds_write_b128 v18, v[9:12] offset:16
	ds_write_b128 v18, v[46:49] offset:32
	;; [unrolled: 1-line block ×3, first 2 shown]
.LBB25_32:                              ;   in Loop: Header=BB25_25 Depth=2
	s_or_b64 exec, exec, s[30:31]
	s_mov_b64 s[30:31], -1
	s_and_saveexec_b64 s[34:35], s[6:7]
	s_cbranch_execz .LBB25_24
; %bb.33:                               ;   in Loop: Header=BB25_25 Depth=2
	v_add_u32_e32 v19, 64, v19
	v_cmp_ge_i32_e32 vcc, v19, v30
	v_add_u32_e32 v23, 0x100, v23
	s_orn2_b64 s[30:31], vcc, exec
	s_branch .LBB25_24
.LBB25_34:                              ;   in Loop: Header=BB25_9 Depth=1
	s_or_b64 exec, exec, s[28:29]
.LBB25_35:                              ;   in Loop: Header=BB25_9 Depth=1
	s_or_b64 exec, exec, s[16:17]
	s_waitcnt lgkmcnt(0)
	ds_read_u8 v9, v42
	s_waitcnt lgkmcnt(0)
	v_and_b32_e32 v10, 1, v9
	v_cmp_eq_u32_e64 s[6:7], 1, v10
	v_cmp_ne_u16_e32 vcc, 0, v9
	s_and_saveexec_b64 s[16:17], s[6:7]
	s_cbranch_execz .LBB25_8
; %bb.36:                               ;   in Loop: Header=BB25_9 Depth=1
	v_and_b32_e32 v10, vcc_lo, v21
	v_and_b32_e32 v9, vcc_hi, v22
	v_bcnt_u32_b32 v10, v10, 0
	v_bcnt_u32_b32 v9, v9, v10
	v_add3_u32 v9, v31, v9, -1
	v_ashrrev_i32_e32 v10, 31, v9
	v_lshlrev_b64 v[10:11], 2, v[9:10]
	v_mov_b32_e32 v18, s25
	v_add_co_u32_e64 v10, s[6:7], s24, v10
	v_add_u32_e32 v12, v32, v43
	v_addc_co_u32_e64 v11, s[6:7], v18, v11, s[6:7]
	global_store_dword v[10:11], v12, off
	v_lshlrev_b32_e32 v23, 2, v9
	ds_read2_b64 v[9:12], v40 offset1:1
	ds_read2_b64 v[46:49], v41 offset1:1
	;; [unrolled: 1-line block ×4, first 2 shown]
	v_lshlrev_b64 v[25:26], 4, v[23:24]
	v_mov_b32_e32 v18, s27
	v_add_co_u32_e64 v25, s[6:7], s26, v25
	v_addc_co_u32_e64 v26, s[6:7], v18, v26, s[6:7]
	s_waitcnt lgkmcnt(1)
	global_store_dwordx4 v[25:26], v[50:53], off
	global_store_dwordx4 v[25:26], v[9:12], off offset:16
	global_store_dwordx4 v[25:26], v[46:49], off offset:32
	s_waitcnt lgkmcnt(0)
	global_store_dwordx4 v[25:26], v[54:57], off offset:48
	s_branch .LBB25_8
.LBB25_37:
	s_endpgm
	.section	.rodata,"a",@progbits
	.p2align	6, 0x0
	.amdhsa_kernel _ZN9rocsparseL39bsrgeam_wf_per_row_multipass_2_3_kernelILj256ELj2ELj64E21rocsparse_complex_numIdEEEv20rocsparse_direction_iiiNS_24const_host_device_scalarIT2_EEPKiS8_PKS5_S6_S8_S8_SA_S8_PiPS5_21rocsparse_index_base_SD_SD_b
		.amdhsa_group_segment_fixed_size 16640
		.amdhsa_private_segment_fixed_size 16
		.amdhsa_kernarg_size 136
		.amdhsa_user_sgpr_count 8
		.amdhsa_user_sgpr_private_segment_buffer 1
		.amdhsa_user_sgpr_dispatch_ptr 0
		.amdhsa_user_sgpr_queue_ptr 0
		.amdhsa_user_sgpr_kernarg_segment_ptr 1
		.amdhsa_user_sgpr_dispatch_id 0
		.amdhsa_user_sgpr_flat_scratch_init 1
		.amdhsa_user_sgpr_private_segment_size 0
		.amdhsa_uses_dynamic_stack 0
		.amdhsa_system_sgpr_private_segment_wavefront_offset 1
		.amdhsa_system_sgpr_workgroup_id_x 1
		.amdhsa_system_sgpr_workgroup_id_y 0
		.amdhsa_system_sgpr_workgroup_id_z 0
		.amdhsa_system_sgpr_workgroup_info 0
		.amdhsa_system_vgpr_workitem_id 0
		.amdhsa_next_free_vgpr 70
		.amdhsa_next_free_sgpr 96
		.amdhsa_reserve_vcc 1
		.amdhsa_reserve_flat_scratch 1
		.amdhsa_float_round_mode_32 0
		.amdhsa_float_round_mode_16_64 0
		.amdhsa_float_denorm_mode_32 3
		.amdhsa_float_denorm_mode_16_64 3
		.amdhsa_dx10_clamp 1
		.amdhsa_ieee_mode 1
		.amdhsa_fp16_overflow 0
		.amdhsa_exception_fp_ieee_invalid_op 0
		.amdhsa_exception_fp_denorm_src 0
		.amdhsa_exception_fp_ieee_div_zero 0
		.amdhsa_exception_fp_ieee_overflow 0
		.amdhsa_exception_fp_ieee_underflow 0
		.amdhsa_exception_fp_ieee_inexact 0
		.amdhsa_exception_int_div_zero 0
	.end_amdhsa_kernel
	.section	.text._ZN9rocsparseL39bsrgeam_wf_per_row_multipass_2_3_kernelILj256ELj2ELj64E21rocsparse_complex_numIdEEEv20rocsparse_direction_iiiNS_24const_host_device_scalarIT2_EEPKiS8_PKS5_S6_S8_S8_SA_S8_PiPS5_21rocsparse_index_base_SD_SD_b,"axG",@progbits,_ZN9rocsparseL39bsrgeam_wf_per_row_multipass_2_3_kernelILj256ELj2ELj64E21rocsparse_complex_numIdEEEv20rocsparse_direction_iiiNS_24const_host_device_scalarIT2_EEPKiS8_PKS5_S6_S8_S8_SA_S8_PiPS5_21rocsparse_index_base_SD_SD_b,comdat
.Lfunc_end25:
	.size	_ZN9rocsparseL39bsrgeam_wf_per_row_multipass_2_3_kernelILj256ELj2ELj64E21rocsparse_complex_numIdEEEv20rocsparse_direction_iiiNS_24const_host_device_scalarIT2_EEPKiS8_PKS5_S6_S8_S8_SA_S8_PiPS5_21rocsparse_index_base_SD_SD_b, .Lfunc_end25-_ZN9rocsparseL39bsrgeam_wf_per_row_multipass_2_3_kernelILj256ELj2ELj64E21rocsparse_complex_numIdEEEv20rocsparse_direction_iiiNS_24const_host_device_scalarIT2_EEPKiS8_PKS5_S6_S8_S8_SA_S8_PiPS5_21rocsparse_index_base_SD_SD_b
                                        ; -- End function
	.set _ZN9rocsparseL39bsrgeam_wf_per_row_multipass_2_3_kernelILj256ELj2ELj64E21rocsparse_complex_numIdEEEv20rocsparse_direction_iiiNS_24const_host_device_scalarIT2_EEPKiS8_PKS5_S6_S8_S8_SA_S8_PiPS5_21rocsparse_index_base_SD_SD_b.num_vgpr, 70
	.set _ZN9rocsparseL39bsrgeam_wf_per_row_multipass_2_3_kernelILj256ELj2ELj64E21rocsparse_complex_numIdEEEv20rocsparse_direction_iiiNS_24const_host_device_scalarIT2_EEPKiS8_PKS5_S6_S8_S8_SA_S8_PiPS5_21rocsparse_index_base_SD_SD_b.num_agpr, 0
	.set _ZN9rocsparseL39bsrgeam_wf_per_row_multipass_2_3_kernelILj256ELj2ELj64E21rocsparse_complex_numIdEEEv20rocsparse_direction_iiiNS_24const_host_device_scalarIT2_EEPKiS8_PKS5_S6_S8_S8_SA_S8_PiPS5_21rocsparse_index_base_SD_SD_b.numbered_sgpr, 36
	.set _ZN9rocsparseL39bsrgeam_wf_per_row_multipass_2_3_kernelILj256ELj2ELj64E21rocsparse_complex_numIdEEEv20rocsparse_direction_iiiNS_24const_host_device_scalarIT2_EEPKiS8_PKS5_S6_S8_S8_SA_S8_PiPS5_21rocsparse_index_base_SD_SD_b.num_named_barrier, 0
	.set _ZN9rocsparseL39bsrgeam_wf_per_row_multipass_2_3_kernelILj256ELj2ELj64E21rocsparse_complex_numIdEEEv20rocsparse_direction_iiiNS_24const_host_device_scalarIT2_EEPKiS8_PKS5_S6_S8_S8_SA_S8_PiPS5_21rocsparse_index_base_SD_SD_b.private_seg_size, 16
	.set _ZN9rocsparseL39bsrgeam_wf_per_row_multipass_2_3_kernelILj256ELj2ELj64E21rocsparse_complex_numIdEEEv20rocsparse_direction_iiiNS_24const_host_device_scalarIT2_EEPKiS8_PKS5_S6_S8_S8_SA_S8_PiPS5_21rocsparse_index_base_SD_SD_b.uses_vcc, 1
	.set _ZN9rocsparseL39bsrgeam_wf_per_row_multipass_2_3_kernelILj256ELj2ELj64E21rocsparse_complex_numIdEEEv20rocsparse_direction_iiiNS_24const_host_device_scalarIT2_EEPKiS8_PKS5_S6_S8_S8_SA_S8_PiPS5_21rocsparse_index_base_SD_SD_b.uses_flat_scratch, 1
	.set _ZN9rocsparseL39bsrgeam_wf_per_row_multipass_2_3_kernelILj256ELj2ELj64E21rocsparse_complex_numIdEEEv20rocsparse_direction_iiiNS_24const_host_device_scalarIT2_EEPKiS8_PKS5_S6_S8_S8_SA_S8_PiPS5_21rocsparse_index_base_SD_SD_b.has_dyn_sized_stack, 0
	.set _ZN9rocsparseL39bsrgeam_wf_per_row_multipass_2_3_kernelILj256ELj2ELj64E21rocsparse_complex_numIdEEEv20rocsparse_direction_iiiNS_24const_host_device_scalarIT2_EEPKiS8_PKS5_S6_S8_S8_SA_S8_PiPS5_21rocsparse_index_base_SD_SD_b.has_recursion, 0
	.set _ZN9rocsparseL39bsrgeam_wf_per_row_multipass_2_3_kernelILj256ELj2ELj64E21rocsparse_complex_numIdEEEv20rocsparse_direction_iiiNS_24const_host_device_scalarIT2_EEPKiS8_PKS5_S6_S8_S8_SA_S8_PiPS5_21rocsparse_index_base_SD_SD_b.has_indirect_call, 0
	.section	.AMDGPU.csdata,"",@progbits
; Kernel info:
; codeLenInByte = 2376
; TotalNumSgprs: 42
; NumVgprs: 70
; ScratchSize: 16
; MemoryBound: 0
; FloatMode: 240
; IeeeMode: 1
; LDSByteSize: 16640 bytes/workgroup (compile time only)
; SGPRBlocks: 12
; VGPRBlocks: 17
; NumSGPRsForWavesPerEU: 102
; NumVGPRsForWavesPerEU: 70
; Occupancy: 3
; WaveLimiterHint : 1
; COMPUTE_PGM_RSRC2:SCRATCH_EN: 1
; COMPUTE_PGM_RSRC2:USER_SGPR: 8
; COMPUTE_PGM_RSRC2:TRAP_HANDLER: 0
; COMPUTE_PGM_RSRC2:TGID_X_EN: 1
; COMPUTE_PGM_RSRC2:TGID_Y_EN: 0
; COMPUTE_PGM_RSRC2:TGID_Z_EN: 0
; COMPUTE_PGM_RSRC2:TIDIG_COMP_CNT: 0
	.section	.text._ZN9rocsparseL39bsrgeam_wf_per_row_multipass_2_3_kernelILj256ELj3ELj32E21rocsparse_complex_numIdEEEv20rocsparse_direction_iiiNS_24const_host_device_scalarIT2_EEPKiS8_PKS5_S6_S8_S8_SA_S8_PiPS5_21rocsparse_index_base_SD_SD_b,"axG",@progbits,_ZN9rocsparseL39bsrgeam_wf_per_row_multipass_2_3_kernelILj256ELj3ELj32E21rocsparse_complex_numIdEEEv20rocsparse_direction_iiiNS_24const_host_device_scalarIT2_EEPKiS8_PKS5_S6_S8_S8_SA_S8_PiPS5_21rocsparse_index_base_SD_SD_b,comdat
	.globl	_ZN9rocsparseL39bsrgeam_wf_per_row_multipass_2_3_kernelILj256ELj3ELj32E21rocsparse_complex_numIdEEEv20rocsparse_direction_iiiNS_24const_host_device_scalarIT2_EEPKiS8_PKS5_S6_S8_S8_SA_S8_PiPS5_21rocsparse_index_base_SD_SD_b ; -- Begin function _ZN9rocsparseL39bsrgeam_wf_per_row_multipass_2_3_kernelILj256ELj3ELj32E21rocsparse_complex_numIdEEEv20rocsparse_direction_iiiNS_24const_host_device_scalarIT2_EEPKiS8_PKS5_S6_S8_S8_SA_S8_PiPS5_21rocsparse_index_base_SD_SD_b
	.p2align	8
	.type	_ZN9rocsparseL39bsrgeam_wf_per_row_multipass_2_3_kernelILj256ELj3ELj32E21rocsparse_complex_numIdEEEv20rocsparse_direction_iiiNS_24const_host_device_scalarIT2_EEPKiS8_PKS5_S6_S8_S8_SA_S8_PiPS5_21rocsparse_index_base_SD_SD_b,@function
_ZN9rocsparseL39bsrgeam_wf_per_row_multipass_2_3_kernelILj256ELj3ELj32E21rocsparse_complex_numIdEEEv20rocsparse_direction_iiiNS_24const_host_device_scalarIT2_EEPKiS8_PKS5_S6_S8_S8_SA_S8_PiPS5_21rocsparse_index_base_SD_SD_b: ; @_ZN9rocsparseL39bsrgeam_wf_per_row_multipass_2_3_kernelILj256ELj3ELj32E21rocsparse_complex_numIdEEEv20rocsparse_direction_iiiNS_24const_host_device_scalarIT2_EEPKiS8_PKS5_S6_S8_S8_SA_S8_PiPS5_21rocsparse_index_base_SD_SD_b
; %bb.0:
	s_add_u32 flat_scratch_lo, s6, s9
	s_load_dwordx4 s[12:15], s[4:5], 0x78
	s_load_dwordx4 s[16:19], s[4:5], 0x10
	s_addc_u32 flat_scratch_hi, s7, 0
	s_add_u32 s0, s0, s9
	s_addc_u32 s1, s1, 0
	s_waitcnt lgkmcnt(0)
	s_bitcmp1_b32 s15, 0
	s_cselect_b64 s[6:7], -1, 0
	s_mov_b64 s[10:11], src_private_base
	v_mov_b32_e32 v1, s17
	s_and_b64 vcc, s[6:7], exec
	buffer_store_dword v1, off, s[0:3], 0 offset:4
	v_mov_b32_e32 v1, s16
	s_cselect_b32 s9, s11, s17
	s_cselect_b32 s10, 0, s16
	buffer_store_dword v1, off, s[0:3], 0
	v_mov_b32_e32 v1, s10
	v_mov_b32_e32 v2, s9
	flat_load_dwordx2 v[13:14], v[1:2]
	v_mov_b32_e32 v15, s18
	v_mov_b32_e32 v16, s19
	s_cbranch_vccnz .LBB26_2
; %bb.1:
	v_mov_b32_e32 v1, s16
	v_mov_b32_e32 v2, s17
	flat_load_dwordx2 v[15:16], v[1:2] offset:8
.LBB26_2:
	s_load_dwordx4 s[16:19], s[4:5], 0x0
	s_lshl_b32 s8, s8, 3
	v_lshrrev_b32_e32 v12, 5, v0
	s_and_b32 s8, s8, 0x7fffff8
	v_or_b32_e32 v1, s8, v12
	s_waitcnt lgkmcnt(0)
	v_cmp_gt_i32_e32 vcc, s17, v1
	s_and_saveexec_b64 s[8:9], vcc
	s_cbranch_execz .LBB26_37
; %bb.3:
	s_load_dwordx4 s[8:11], s[4:5], 0x20
	s_load_dwordx2 s[24:25], s[4:5], 0x38
	s_load_dwordx2 s[26:27], s[4:5], 0x60
	s_load_dwordx4 s[20:23], s[4:5], 0x48
	s_add_u32 s15, s4, 56
	s_addc_u32 s17, s5, 0
	s_and_b64 s[6:7], s[6:7], exec
	s_waitcnt lgkmcnt(0)
	s_cselect_b32 s6, s17, s25
	s_cselect_b32 s7, s15, s24
	v_lshlrev_b32_e32 v11, 2, v1
	v_mov_b32_e32 v9, s7
	v_mov_b32_e32 v10, s6
	global_load_dwordx2 v[5:6], v11, s[8:9]
	global_load_dwordx2 v[7:8], v11, s[20:21]
	global_load_dword v17, v11, s[26:27]
	flat_load_dwordx4 v[1:4], v[9:10]
	s_waitcnt vmcnt(0)
	v_subrev_u32_e32 v9, s12, v5
	v_cmp_lt_i32_e32 vcc, v5, v6
	v_mov_b32_e32 v5, s18
	s_and_saveexec_b64 s[6:7], vcc
	s_cbranch_execz .LBB26_5
; %bb.4:
	v_ashrrev_i32_e32 v10, 31, v9
	v_lshlrev_b64 v[10:11], 2, v[9:10]
	v_mov_b32_e32 v5, s11
	v_add_co_u32_e32 v10, vcc, s10, v10
	v_addc_co_u32_e32 v11, vcc, v5, v11, vcc
	global_load_dword v5, v[10:11], off
	s_waitcnt vmcnt(0)
	v_subrev_u32_e32 v5, s12, v5
.LBB26_5:
	s_or_b64 exec, exec, s[6:7]
	s_load_dwordx4 s[24:27], s[4:5], 0x68
	s_load_dwordx2 s[8:9], s[4:5], 0x58
	s_load_dwordx2 s[20:21], s[4:5], 0x30
	v_subrev_u32_e32 v10, s13, v7
	v_cmp_lt_i32_e32 vcc, v7, v8
	v_mov_b32_e32 v7, s18
	s_and_saveexec_b64 s[4:5], vcc
	s_cbranch_execz .LBB26_7
; %bb.6:
	v_ashrrev_i32_e32 v11, 31, v10
	v_lshlrev_b64 v[18:19], 2, v[10:11]
	v_mov_b32_e32 v7, s23
	v_add_co_u32_e32 v18, vcc, s22, v18
	v_addc_co_u32_e32 v19, vcc, v7, v19, vcc
	global_load_dword v7, v[18:19], off
	s_waitcnt vmcnt(0)
	v_subrev_u32_e32 v7, s13, v7
.LBB26_7:
	s_or_b64 exec, exec, s[4:5]
	v_min_i32_e32 v59, v7, v5
	v_mbcnt_lo_u32_b32 v5, -1, 0
	v_subrev_u32_e32 v38, s12, v6
	v_and_b32_e32 v6, 31, v0
	v_mbcnt_hi_u32_b32 v5, -1, v5
	v_subrev_u32_e32 v39, s13, v8
	v_and_b32_e32 v7, 64, v5
	v_xor_b32_e32 v8, 31, v6
	v_add_u32_e32 v7, 64, v7
	v_lshrrev_b32_e64 v41, v8, -1
	v_xor_b32_e32 v8, 16, v5
	v_cmp_lt_i32_e32 vcc, v8, v7
	v_xor_b32_e32 v20, 8, v5
	v_cndmask_b32_e32 v8, v5, v8, vcc
	v_cmp_lt_i32_e32 vcc, v20, v7
	v_cndmask_b32_e32 v20, v5, v20, vcc
	v_lshlrev_b32_e32 v46, 2, v20
	v_xor_b32_e32 v20, 4, v5
	v_cmp_lt_i32_e32 vcc, v20, v7
	v_cndmask_b32_e32 v20, v5, v20, vcc
	v_lshlrev_b32_e32 v47, 2, v20
	v_xor_b32_e32 v20, 2, v5
	v_cmp_lt_i32_e32 vcc, v20, v7
	v_cndmask_b32_e32 v20, v5, v20, vcc
	v_and_b32_e32 v11, 0xe0, v0
	s_movk_i32 s4, 0x1200
	v_mul_u32_u24_e32 v0, 0x90, v6
	s_cmp_lg_u32 s16, 0
	v_lshlrev_b32_e32 v48, 2, v20
	v_xor_b32_e32 v20, 1, v5
	v_mad_u32_u24 v0, v12, s4, v0
	s_mov_b32 s4, 0
	s_cselect_b64 s[28:29], -1, 0
	s_cmp_eq_u32 s16, 0
	v_cmp_lt_i32_e32 vcc, v20, v7
	v_or_b32_e32 v36, 0x9000, v11
	v_mul_u32_u24_e32 v37, 0x1200, v12
	v_subrev_u32_e32 v40, s14, v17
	v_add_u32_e32 v17, v9, v6
	v_add_u32_e32 v19, v10, v6
	v_lshlrev_b32_e32 v43, 2, v8
	v_add_u32_e32 v8, 16, v0
	v_add_u32_e32 v9, 32, v0
	;; [unrolled: 1-line block ×4, first 2 shown]
	v_cndmask_b32_e32 v5, v5, v20, vcc
	s_cselect_b64 vcc, -1, 0
	s_mov_b32 s7, s4
	v_add_u32_e32 v42, s14, v6
	v_add_u32_e32 v11, 0x50, v0
	;; [unrolled: 1-line block ×3, first 2 shown]
	v_lshlrev_b32_e32 v49, 2, v5
	v_cndmask_b32_e32 v50, v10, v8, vcc
	v_cndmask_b32_e32 v51, v12, v9, vcc
	;; [unrolled: 1-line block ×4, first 2 shown]
	v_add_u32_e32 v56, v36, v6
	s_mov_b32 s5, s4
	s_mov_b32 s6, s4
	v_mov_b32_e32 v8, s7
	v_cndmask_b32_e64 v9, 0, 1, s[28:29]
	s_movk_i32 s19, 0x90
	v_add_u32_e32 v44, 64, v0
	v_add_u32_e32 v45, 0x80, v0
	v_cndmask_b32_e32 v53, v18, v11, vcc
	v_cndmask_b32_e32 v55, v11, v18, vcc
	s_mov_b64 s[14:15], 0
	v_mov_b32_e32 v21, 0
	v_mov_b32_e32 v7, s6
	;; [unrolled: 1-line block ×5, first 2 shown]
	v_cmp_ne_u32_e64 s[4:5], 1, v9
	s_branch .LBB26_9
.LBB26_8:                               ;   in Loop: Header=BB26_9 Depth=1
	s_or_b64 exec, exec, s[16:17]
	ds_bpermute_b32 v9, v43, v58
	s_bcnt1_i32_b64 s6, vcc
	v_add_u32_e32 v40, s6, v40
	s_waitcnt lgkmcnt(0)
	v_min_i32_e32 v9, v9, v58
	ds_bpermute_b32 v10, v46, v9
	s_waitcnt lgkmcnt(0)
	v_min_i32_e32 v9, v10, v9
	ds_bpermute_b32 v10, v47, v9
	;; [unrolled: 3-line block ×4, first 2 shown]
	s_waitcnt lgkmcnt(0)
	v_min_i32_e32 v59, v10, v9
	v_cmp_le_i32_e32 vcc, s18, v59
	s_or_b64 s[14:15], vcc, s[14:15]
	s_andn2_b64 exec, exec, s[14:15]
	s_cbranch_execz .LBB26_37
.LBB26_9:                               ; =>This Loop Header: Depth=1
                                        ;     Child Loop BB26_12 Depth 2
                                        ;     Child Loop BB26_25 Depth 2
	v_cmp_lt_i32_e32 vcc, v17, v38
	v_mov_b32_e32 v58, s18
	ds_write_b8 v56, v21
	ds_write_b128 v0, v[5:8]
	ds_write_b128 v0, v[5:8] offset:16
	ds_write_b128 v0, v[5:8] offset:32
	ds_write_b128 v0, v[5:8] offset:48
	ds_write_b128 v0, v[5:8] offset:64
	ds_write_b128 v0, v[5:8] offset:80
	ds_write_b128 v0, v[5:8] offset:96
	ds_write_b128 v0, v[5:8] offset:112
	ds_write_b128 v0, v[5:8] offset:128
	s_waitcnt lgkmcnt(0)
	s_and_saveexec_b64 s[16:17], vcc
	s_cbranch_execz .LBB26_22
; %bb.10:                               ;   in Loop: Header=BB26_9 Depth=1
	v_mad_u64_u32 v[9:10], s[6:7], v17, 9, 8
	s_mov_b64 s[28:29], 0
	v_mov_b32_e32 v58, s18
	s_branch .LBB26_12
.LBB26_11:                              ;   in Loop: Header=BB26_12 Depth=2
	s_or_b64 exec, exec, s[34:35]
	s_and_b64 s[6:7], exec, s[30:31]
	s_or_b64 s[28:29], s[6:7], s[28:29]
	s_andn2_b64 exec, exec, s[28:29]
	s_cbranch_execz .LBB26_21
.LBB26_12:                              ;   Parent Loop BB26_9 Depth=1
                                        ; =>  This Inner Loop Header: Depth=2
	v_ashrrev_i32_e32 v18, 31, v17
	v_lshlrev_b64 v[10:11], 2, v[17:18]
	v_mov_b32_e32 v12, s11
	v_add_co_u32_e32 v10, vcc, s10, v10
	v_addc_co_u32_e32 v11, vcc, v12, v11, vcc
	global_load_dword v10, v[10:11], off
	s_waitcnt vmcnt(0)
	v_subrev_u32_e32 v11, s12, v10
	v_sub_u32_e32 v10, v11, v59
	v_cmp_gt_u32_e64 s[6:7], 32, v10
	v_cmp_lt_u32_e32 vcc, 31, v10
	s_and_saveexec_b64 s[30:31], vcc
	s_xor_b64 s[30:31], exec, s[30:31]
; %bb.13:                               ;   in Loop: Header=BB26_12 Depth=2
	v_min_i32_e32 v58, v11, v58
                                        ; implicit-def: $vgpr10
; %bb.14:                               ;   in Loop: Header=BB26_12 Depth=2
	s_andn2_saveexec_b64 s[30:31], s[30:31]
	s_cbranch_execz .LBB26_19
; %bb.15:                               ;   in Loop: Header=BB26_12 Depth=2
	v_add_u32_e32 v20, -8, v9
	v_lshlrev_b64 v[11:12], 4, v[20:21]
	v_mov_b32_e32 v18, s21
	v_add_co_u32_e32 v11, vcc, s20, v11
	v_addc_co_u32_e32 v12, vcc, v18, v12, vcc
	global_load_dwordx4 v[23:26], v[11:12], off
	v_add_u32_e32 v18, v36, v10
	v_mul_lo_u32 v10, v10, s19
	s_mov_b64 s[34:35], -1
	s_and_b64 vcc, exec, s[4:5]
	v_add_u32_e32 v22, -2, v9
	v_add_u32_e32 v30, -7, v9
	;; [unrolled: 1-line block ×3, first 2 shown]
	ds_write_b8 v18, v57
	v_add_u32_e32 v20, -5, v9
	v_add_u32_e32 v18, v37, v10
	s_waitcnt vmcnt(0)
	v_mul_f64 v[11:12], v[25:26], -v[15:16]
	v_mul_f64 v[25:26], v[13:14], v[25:26]
	v_fma_f64 v[31:32], v[13:14], v[23:24], v[11:12]
	v_fma_f64 v[33:34], v[15:16], v[23:24], v[25:26]
	v_add_u32_e32 v26, -4, v9
	v_add_u32_e32 v11, -1, v9
	;; [unrolled: 1-line block ×3, first 2 shown]
	ds_write_b128 v18, v[31:34]
	s_cbranch_vccnz .LBB26_17
; %bb.16:                               ;   in Loop: Header=BB26_12 Depth=2
	v_lshlrev_b64 v[31:32], 4, v[20:21]
	v_mov_b32_e32 v10, s21
	v_add_co_u32_e32 v64, vcc, s20, v31
	v_mov_b32_e32 v23, v21
	v_addc_co_u32_e32 v65, vcc, v10, v32, vcc
	v_lshlrev_b64 v[31:32], 4, v[22:23]
	v_mov_b32_e32 v27, v21
	v_add_co_u32_e32 v66, vcc, s20, v31
	v_mov_b32_e32 v31, v21
	v_addc_co_u32_e32 v67, vcc, v10, v32, vcc
	global_load_dwordx4 v[32:35], v[64:65], off
	global_load_dwordx4 v[60:63], v[66:67], off
	v_lshlrev_b64 v[64:65], 4, v[30:31]
	v_mov_b32_e32 v12, v21
	v_add_co_u32_e32 v72, vcc, s20, v64
	v_addc_co_u32_e32 v73, vcc, v10, v65, vcc
	v_lshlrev_b64 v[64:65], 4, v[26:27]
	v_mov_b32_e32 v29, v21
	v_add_co_u32_e32 v74, vcc, s20, v64
	v_addc_co_u32_e32 v75, vcc, v10, v65, vcc
	global_load_dwordx4 v[64:67], v[72:73], off
	global_load_dwordx4 v[68:71], v[74:75], off
	v_lshlrev_b64 v[72:73], 4, v[11:12]
	v_mov_b32_e32 v25, v21
	v_add_co_u32_e32 v80, vcc, s20, v72
	v_addc_co_u32_e32 v81, vcc, v10, v73, vcc
	v_lshlrev_b64 v[72:73], 4, v[28:29]
	s_mov_b64 s[34:35], 0
	v_add_co_u32_e32 v82, vcc, s20, v72
	v_addc_co_u32_e32 v83, vcc, v10, v73, vcc
	global_load_dwordx4 v[72:75], v[80:81], off
	global_load_dwordx4 v[76:79], v[82:83], off
	v_lshlrev_b64 v[80:81], 4, v[24:25]
	v_add_co_u32_e32 v80, vcc, s20, v80
	v_addc_co_u32_e32 v81, vcc, v10, v81, vcc
	v_mov_b32_e32 v10, v21
	v_lshlrev_b64 v[84:85], 4, v[9:10]
	v_mov_b32_e32 v10, s21
	v_add_co_u32_e32 v84, vcc, s20, v84
	global_load_dwordx4 v[80:83], v[80:81], off
	v_addc_co_u32_e32 v85, vcc, v10, v85, vcc
	global_load_dwordx4 v[84:87], v[84:85], off
	s_waitcnt vmcnt(7)
	v_mul_f64 v[88:89], v[34:35], -v[15:16]
	v_mul_f64 v[34:35], v[13:14], v[34:35]
	s_waitcnt vmcnt(6)
	v_mul_f64 v[90:91], v[62:63], -v[15:16]
	v_mul_f64 v[62:63], v[13:14], v[62:63]
	;; [unrolled: 3-line block ×8, first 2 shown]
	v_fma_f64 v[86:87], v[13:14], v[32:33], v[88:89]
	v_fma_f64 v[88:89], v[15:16], v[32:33], v[34:35]
	;; [unrolled: 1-line block ×16, first 2 shown]
	ds_write_b128 v18, v[86:89] offset:16
	ds_write_b128 v18, v[31:34] offset:32
	;; [unrolled: 1-line block ×8, first 2 shown]
.LBB26_17:                              ;   in Loop: Header=BB26_12 Depth=2
	s_andn2_b64 vcc, exec, s[34:35]
	s_cbranch_vccnz .LBB26_19
; %bb.18:                               ;   in Loop: Header=BB26_12 Depth=2
	v_mov_b32_e32 v31, v21
	v_lshlrev_b64 v[29:30], 4, v[30:31]
	v_mov_b32_e32 v10, s21
	v_add_co_u32_e32 v60, vcc, s20, v29
	v_mov_b32_e32 v29, v21
	v_lshlrev_b64 v[27:28], 4, v[28:29]
	v_addc_co_u32_e32 v61, vcc, v10, v30, vcc
	v_add_co_u32_e32 v62, vcc, s20, v27
	v_addc_co_u32_e32 v63, vcc, v10, v28, vcc
	global_load_dwordx4 v[28:31], v[60:61], off
	global_load_dwordx4 v[32:35], v[62:63], off
	v_lshlrev_b64 v[60:61], 4, v[20:21]
	v_mov_b32_e32 v27, v21
	v_add_co_u32_e32 v68, vcc, s20, v60
	v_lshlrev_b64 v[25:26], 4, v[26:27]
	v_addc_co_u32_e32 v69, vcc, v10, v61, vcc
	v_add_co_u32_e32 v25, vcc, s20, v25
	v_addc_co_u32_e32 v26, vcc, v10, v26, vcc
	global_load_dwordx4 v[60:63], v[68:69], off
	global_load_dwordx4 v[64:67], v[25:26], off
	v_mov_b32_e32 v25, v21
	v_lshlrev_b64 v[23:24], 4, v[24:25]
	v_mov_b32_e32 v12, v21
	v_add_co_u32_e32 v26, vcc, s20, v23
	v_mov_b32_e32 v23, v21
	v_lshlrev_b64 v[22:23], 4, v[22:23]
	v_addc_co_u32_e32 v27, vcc, v10, v24, vcc
	v_add_co_u32_e32 v72, vcc, s20, v22
	v_addc_co_u32_e32 v73, vcc, v10, v23, vcc
	v_lshlrev_b64 v[10:11], 4, v[11:12]
	v_mov_b32_e32 v12, s21
	v_add_co_u32_e32 v10, vcc, s20, v10
	v_addc_co_u32_e32 v11, vcc, v12, v11, vcc
	global_load_dwordx4 v[22:25], v[26:27], off
	global_load_dwordx4 v[68:71], v[72:73], off
	s_waitcnt vmcnt(4)
	v_mul_f64 v[80:81], v[34:35], -v[15:16]
	global_load_dwordx4 v[72:75], v[10:11], off
	v_mov_b32_e32 v10, v21
	v_lshlrev_b64 v[10:11], 4, v[9:10]
	v_mul_f64 v[34:35], v[13:14], v[34:35]
	v_add_co_u32_e32 v10, vcc, s20, v10
	v_addc_co_u32_e32 v11, vcc, v12, v11, vcc
	global_load_dwordx4 v[76:79], v[10:11], off
	s_waitcnt vmcnt(5)
	v_mul_f64 v[10:11], v[62:63], -v[15:16]
	v_mul_f64 v[26:27], v[13:14], v[62:63]
	v_mul_f64 v[62:63], v[30:31], -v[15:16]
	v_mul_f64 v[30:31], v[13:14], v[30:31]
	s_waitcnt vmcnt(4)
	v_mul_f64 v[82:83], v[66:67], -v[15:16]
	v_mul_f64 v[66:67], v[13:14], v[66:67]
	v_fma_f64 v[26:27], v[15:16], v[60:61], v[26:27]
	s_waitcnt vmcnt(3)
	v_mul_f64 v[84:85], v[24:25], -v[15:16]
	v_mul_f64 v[86:87], v[13:14], v[24:25]
	s_waitcnt vmcnt(2)
	v_mul_f64 v[88:89], v[70:71], -v[15:16]
	v_mul_f64 v[70:71], v[13:14], v[70:71]
	v_fma_f64 v[24:25], v[13:14], v[60:61], v[10:11]
	v_fma_f64 v[60:61], v[13:14], v[28:29], v[62:63]
	;; [unrolled: 1-line block ×10, first 2 shown]
	s_waitcnt vmcnt(1)
	v_mul_f64 v[90:91], v[74:75], -v[15:16]
	v_mul_f64 v[74:75], v[13:14], v[74:75]
	s_waitcnt vmcnt(0)
	v_mul_f64 v[92:93], v[78:79], -v[15:16]
	v_mul_f64 v[94:95], v[13:14], v[78:79]
	v_fma_f64 v[78:79], v[13:14], v[68:69], v[88:89]
	v_fma_f64 v[68:69], v[13:14], v[72:73], v[90:91]
	;; [unrolled: 1-line block ×5, first 2 shown]
	ds_write_b128 v18, v[24:27] offset:48
	ds_write_b128 v18, v[60:63] offset:16
	;; [unrolled: 1-line block ×8, first 2 shown]
.LBB26_19:                              ;   in Loop: Header=BB26_12 Depth=2
	s_or_b64 exec, exec, s[30:31]
	s_mov_b64 s[30:31], -1
	s_and_saveexec_b64 s[34:35], s[6:7]
	s_cbranch_execz .LBB26_11
; %bb.20:                               ;   in Loop: Header=BB26_12 Depth=2
	v_add_u32_e32 v17, 32, v17
	v_cmp_ge_i32_e32 vcc, v17, v38
	v_add_u32_e32 v9, 0x120, v9
	s_orn2_b64 s[30:31], vcc, exec
	s_branch .LBB26_11
.LBB26_21:                              ;   in Loop: Header=BB26_9 Depth=1
	s_or_b64 exec, exec, s[28:29]
.LBB26_22:                              ;   in Loop: Header=BB26_9 Depth=1
	s_or_b64 exec, exec, s[16:17]
	v_cmp_lt_i32_e32 vcc, v19, v39
	s_waitcnt lgkmcnt(0)
	s_and_saveexec_b64 s[16:17], vcc
	s_cbranch_execz .LBB26_35
; %bb.23:                               ;   in Loop: Header=BB26_9 Depth=1
	v_mad_u64_u32 v[22:23], s[6:7], v19, 9, 8
	s_mov_b64 s[28:29], 0
	s_branch .LBB26_25
.LBB26_24:                              ;   in Loop: Header=BB26_25 Depth=2
	s_or_b64 exec, exec, s[34:35]
	s_and_b64 s[6:7], exec, s[30:31]
	s_or_b64 s[28:29], s[6:7], s[28:29]
	s_andn2_b64 exec, exec, s[28:29]
	s_cbranch_execz .LBB26_34
.LBB26_25:                              ;   Parent Loop BB26_9 Depth=1
                                        ; =>  This Inner Loop Header: Depth=2
	v_ashrrev_i32_e32 v20, 31, v19
	s_waitcnt lgkmcnt(2)
	v_lshlrev_b64 v[9:10], 2, v[19:20]
	v_mov_b32_e32 v11, s23
	v_add_co_u32_e32 v9, vcc, s22, v9
	v_addc_co_u32_e32 v10, vcc, v11, v10, vcc
	global_load_dword v9, v[9:10], off
	s_waitcnt vmcnt(0)
	v_subrev_u32_e32 v9, s13, v9
	v_sub_u32_e32 v23, v9, v59
	v_cmp_gt_u32_e64 s[6:7], 32, v23
	v_cmp_lt_u32_e32 vcc, 31, v23
	s_and_saveexec_b64 s[30:31], vcc
	s_xor_b64 s[30:31], exec, s[30:31]
; %bb.26:                               ;   in Loop: Header=BB26_25 Depth=2
	v_min_i32_e32 v58, v9, v58
                                        ; implicit-def: $vgpr23
; %bb.27:                               ;   in Loop: Header=BB26_25 Depth=2
	s_andn2_saveexec_b64 s[30:31], s[30:31]
	s_cbranch_execz .LBB26_32
; %bb.28:                               ;   in Loop: Header=BB26_25 Depth=2
	v_add_u32_e32 v20, -8, v22
	v_lshlrev_b64 v[9:10], 4, v[20:21]
	v_mov_b32_e32 v11, s9
	v_add_co_u32_e32 v9, vcc, s8, v9
	v_addc_co_u32_e32 v10, vcc, v11, v10, vcc
	global_load_dwordx4 v[24:27], v[9:10], off
	v_mul_lo_u32 v9, v23, s19
	v_add_u32_e32 v20, v36, v23
	s_mov_b64 s[34:35], -1
	s_and_b64 vcc, exec, s[4:5]
	v_add_u32_e32 v18, v37, v9
	ds_read_b128 v[28:31], v18
	ds_read_b128 v[9:12], v18 offset:16
	v_add_u32_e32 v34, -7, v22
	v_add_u32_e32 v32, -6, v22
	ds_write_b8 v20, v57
	v_add_u32_e32 v20, -5, v22
	s_waitcnt vmcnt(0) lgkmcnt(2)
	v_fma_f64 v[28:29], v[1:2], v[24:25], v[28:29]
	v_fma_f64 v[24:25], v[3:4], v[24:25], v[30:31]
	v_add_u32_e32 v30, -4, v22
	v_fma_f64 v[60:61], -v[3:4], v[26:27], v[28:29]
	v_fma_f64 v[62:63], v[1:2], v[26:27], v[24:25]
	v_add_u32_e32 v26, -2, v22
	v_add_u32_e32 v24, -1, v22
	;; [unrolled: 1-line block ×3, first 2 shown]
	ds_write_b128 v18, v[60:63]
	s_cbranch_vccnz .LBB26_30
; %bb.29:                               ;   in Loop: Header=BB26_25 Depth=2
	v_lshlrev_b64 v[60:61], 4, v[20:21]
	v_mov_b32_e32 v23, s9
	v_add_co_u32_e32 v68, vcc, s8, v60
	v_mov_b32_e32 v27, v21
	v_addc_co_u32_e32 v69, vcc, v23, v61, vcc
	v_lshlrev_b64 v[60:61], 4, v[26:27]
	v_mov_b32_e32 v35, v21
	v_add_co_u32_e32 v70, vcc, s8, v60
	v_addc_co_u32_e32 v71, vcc, v23, v61, vcc
	global_load_dwordx4 v[60:63], v[68:69], off
	global_load_dwordx4 v[64:67], v[70:71], off
	v_lshlrev_b64 v[68:69], 4, v[34:35]
	v_mov_b32_e32 v31, v21
	v_add_co_u32_e32 v76, vcc, s8, v68
	v_addc_co_u32_e32 v77, vcc, v23, v69, vcc
	v_lshlrev_b64 v[68:69], 4, v[30:31]
	v_mov_b32_e32 v25, v21
	v_add_co_u32_e32 v78, vcc, s8, v68
	v_addc_co_u32_e32 v79, vcc, v23, v69, vcc
	global_load_dwordx4 v[68:71], v[76:77], off
	global_load_dwordx4 v[72:75], v[78:79], off
	v_lshlrev_b64 v[76:77], 4, v[24:25]
	v_mov_b32_e32 v33, v21
	v_add_co_u32_e32 v84, vcc, s8, v76
	v_addc_co_u32_e32 v85, vcc, v23, v77, vcc
	v_lshlrev_b64 v[76:77], 4, v[32:33]
	v_mov_b32_e32 v29, v21
	v_add_co_u32_e32 v86, vcc, s8, v76
	v_addc_co_u32_e32 v87, vcc, v23, v77, vcc
	global_load_dwordx4 v[76:79], v[84:85], off
	global_load_dwordx4 v[80:83], v[86:87], off
	v_lshlrev_b64 v[84:85], 4, v[28:29]
	s_mov_b64 s[34:35], 0
	v_add_co_u32_e32 v84, vcc, s8, v84
	v_addc_co_u32_e32 v85, vcc, v23, v85, vcc
	v_mov_b32_e32 v23, v21
	v_lshlrev_b64 v[88:89], 4, v[22:23]
	v_mov_b32_e32 v23, s9
	v_add_co_u32_e32 v88, vcc, s8, v88
	global_load_dwordx4 v[84:87], v[84:85], off
	v_addc_co_u32_e32 v89, vcc, v23, v89, vcc
	global_load_dwordx4 v[88:91], v[88:89], off
	ds_read_b128 v[92:95], v18 offset:32
	ds_read_b128 v[96:99], v18 offset:48
	;; [unrolled: 1-line block ×7, first 2 shown]
	s_waitcnt vmcnt(7) lgkmcnt(9)
	v_fma_f64 v[120:121], v[1:2], v[60:61], v[9:10]
	s_waitcnt vmcnt(6) lgkmcnt(6)
	v_fma_f64 v[92:93], v[1:2], v[64:65], v[92:93]
	v_fma_f64 v[122:123], v[3:4], v[60:61], v[11:12]
	;; [unrolled: 1-line block ×3, first 2 shown]
	v_fma_f64 v[60:61], -v[3:4], v[62:63], v[120:121]
	v_fma_f64 v[64:65], -v[3:4], v[66:67], v[92:93]
	v_fma_f64 v[62:63], v[1:2], v[62:63], v[122:123]
	v_fma_f64 v[66:67], v[1:2], v[66:67], v[94:95]
	s_waitcnt vmcnt(5) lgkmcnt(5)
	v_fma_f64 v[96:97], v[1:2], v[68:69], v[96:97]
	v_fma_f64 v[98:99], v[3:4], v[68:69], v[98:99]
	s_waitcnt vmcnt(4) lgkmcnt(4)
	v_fma_f64 v[100:101], v[1:2], v[72:73], v[100:101]
	v_fma_f64 v[102:103], v[3:4], v[72:73], v[102:103]
	v_fma_f64 v[68:69], -v[3:4], v[70:71], v[96:97]
	v_fma_f64 v[70:71], v[1:2], v[70:71], v[98:99]
	v_fma_f64 v[72:73], -v[3:4], v[74:75], v[100:101]
	v_fma_f64 v[74:75], v[1:2], v[74:75], v[102:103]
	s_waitcnt vmcnt(3) lgkmcnt(3)
	v_fma_f64 v[104:105], v[1:2], v[76:77], v[104:105]
	v_fma_f64 v[106:107], v[3:4], v[76:77], v[106:107]
	s_waitcnt vmcnt(2) lgkmcnt(2)
	v_fma_f64 v[108:109], v[1:2], v[80:81], v[108:109]
	v_fma_f64 v[110:111], v[3:4], v[80:81], v[110:111]
	v_fma_f64 v[76:77], -v[3:4], v[78:79], v[104:105]
	v_fma_f64 v[78:79], v[1:2], v[78:79], v[106:107]
	v_fma_f64 v[80:81], -v[3:4], v[82:83], v[108:109]
	;; [unrolled: 10-line block ×3, first 2 shown]
	v_fma_f64 v[90:91], v[1:2], v[90:91], v[92:93]
	ds_write_b128 v18, v[60:63] offset:16
	ds_write_b128 v18, v[64:67] offset:32
	;; [unrolled: 1-line block ×8, first 2 shown]
.LBB26_30:                              ;   in Loop: Header=BB26_25 Depth=2
	s_andn2_b64 vcc, exec, s[34:35]
	s_cbranch_vccnz .LBB26_32
; %bb.31:                               ;   in Loop: Header=BB26_25 Depth=2
	v_mov_b32_e32 v35, v21
	v_lshlrev_b64 v[33:34], 4, v[34:35]
	v_mov_b32_e32 v23, s9
	v_add_co_u32_e32 v64, vcc, s8, v33
	v_mov_b32_e32 v33, v21
	v_lshlrev_b64 v[31:32], 4, v[32:33]
	v_addc_co_u32_e32 v65, vcc, v23, v34, vcc
	v_add_co_u32_e32 v66, vcc, s8, v31
	v_addc_co_u32_e32 v67, vcc, v23, v32, vcc
	global_load_dwordx4 v[32:35], v[64:65], off
	global_load_dwordx4 v[60:63], v[66:67], off
	v_lshlrev_b64 v[64:65], 4, v[20:21]
	v_mov_b32_e32 v31, v21
	v_mov_b32_e32 v20, s9
	v_add_co_u32_e32 v72, vcc, s8, v64
	v_lshlrev_b64 v[29:30], 4, v[30:31]
	v_addc_co_u32_e32 v73, vcc, v20, v65, vcc
	v_add_co_u32_e32 v29, vcc, s8, v29
	v_addc_co_u32_e32 v30, vcc, v20, v30, vcc
	global_load_dwordx4 v[64:67], v[72:73], off
	global_load_dwordx4 v[68:71], v[29:30], off
	v_mov_b32_e32 v29, v21
	v_lshlrev_b64 v[27:28], 4, v[28:29]
	v_add_co_u32_e32 v30, vcc, s8, v27
	v_mov_b32_e32 v27, v21
	v_lshlrev_b64 v[25:26], 4, v[26:27]
	v_addc_co_u32_e32 v31, vcc, v20, v28, vcc
	v_add_co_u32_e32 v76, vcc, s8, v25
	v_mov_b32_e32 v25, v21
	v_lshlrev_b64 v[23:24], 4, v[24:25]
	v_addc_co_u32_e32 v77, vcc, v20, v26, vcc
	v_add_co_u32_e32 v23, vcc, s8, v23
	v_addc_co_u32_e32 v24, vcc, v20, v24, vcc
	global_load_dwordx4 v[26:29], v[30:31], off
	global_load_dwordx4 v[72:75], v[76:77], off
	s_nop 0
	global_load_dwordx4 v[76:79], v[23:24], off
	v_mov_b32_e32 v23, v21
	v_lshlrev_b64 v[23:24], 4, v[22:23]
	v_add_co_u32_e32 v23, vcc, s8, v23
	v_addc_co_u32_e32 v24, vcc, v20, v24, vcc
	global_load_dwordx4 v[80:83], v[23:24], off
	ds_read_b128 v[84:87], v18 offset:32
	ds_read_b128 v[88:91], v18 offset:48
	;; [unrolled: 1-line block ×7, first 2 shown]
	s_waitcnt vmcnt(6) lgkmcnt(6)
	v_fma_f64 v[84:85], v[1:2], v[60:61], v[84:85]
	v_fma_f64 v[60:61], v[3:4], v[60:61], v[86:87]
	s_waitcnt vmcnt(5) lgkmcnt(5)
	v_fma_f64 v[23:24], v[1:2], v[64:65], v[88:89]
	v_fma_f64 v[30:31], v[3:4], v[64:65], v[90:91]
	;; [unrolled: 1-line block ×4, first 2 shown]
	s_waitcnt vmcnt(4) lgkmcnt(4)
	v_fma_f64 v[86:87], v[1:2], v[68:69], v[92:93]
	v_fma_f64 v[68:69], v[3:4], v[68:69], v[94:95]
	v_fma_f64 v[9:10], -v[3:4], v[66:67], v[23:24]
	v_fma_f64 v[11:12], v[1:2], v[66:67], v[30:31]
	v_fma_f64 v[23:24], -v[3:4], v[34:35], v[64:65]
	v_fma_f64 v[30:31], -v[3:4], v[62:63], v[84:85]
	s_waitcnt vmcnt(3) lgkmcnt(3)
	v_fma_f64 v[88:89], v[1:2], v[26:27], v[96:97]
	v_fma_f64 v[90:91], v[3:4], v[26:27], v[98:99]
	s_waitcnt vmcnt(2) lgkmcnt(2)
	v_fma_f64 v[92:93], v[1:2], v[72:73], v[100:101]
	v_fma_f64 v[72:73], v[3:4], v[72:73], v[102:103]
	;; [unrolled: 3-line block ×3, first 2 shown]
	v_fma_f64 v[25:26], v[1:2], v[34:35], v[32:33]
	v_fma_f64 v[32:33], v[1:2], v[62:63], v[60:61]
	v_fma_f64 v[60:61], -v[3:4], v[70:71], v[86:87]
	v_fma_f64 v[62:63], v[1:2], v[70:71], v[68:69]
	v_fma_f64 v[64:65], -v[3:4], v[28:29], v[88:89]
	s_waitcnt vmcnt(0) lgkmcnt(0)
	v_fma_f64 v[96:97], v[1:2], v[80:81], v[108:109]
	v_fma_f64 v[34:35], v[3:4], v[80:81], v[110:111]
	v_fma_f64 v[66:67], v[1:2], v[28:29], v[90:91]
	v_fma_f64 v[68:69], -v[3:4], v[74:75], v[92:93]
	v_fma_f64 v[70:71], v[1:2], v[74:75], v[72:73]
	v_fma_f64 v[72:73], -v[3:4], v[78:79], v[94:95]
	v_fma_f64 v[74:75], v[1:2], v[78:79], v[76:77]
	v_fma_f64 v[76:77], -v[3:4], v[82:83], v[96:97]
	v_fma_f64 v[78:79], v[1:2], v[82:83], v[34:35]
	ds_write_b128 v18, v[23:26] offset:16
	ds_write_b128 v18, v[30:33] offset:32
	;; [unrolled: 1-line block ×8, first 2 shown]
.LBB26_32:                              ;   in Loop: Header=BB26_25 Depth=2
	s_or_b64 exec, exec, s[30:31]
	s_mov_b64 s[30:31], -1
	s_and_saveexec_b64 s[34:35], s[6:7]
	s_cbranch_execz .LBB26_24
; %bb.33:                               ;   in Loop: Header=BB26_25 Depth=2
	v_add_u32_e32 v19, 32, v19
	v_cmp_ge_i32_e32 vcc, v19, v39
	v_add_u32_e32 v22, 0x120, v22
	s_orn2_b64 s[30:31], vcc, exec
	s_branch .LBB26_24
.LBB26_34:                              ;   in Loop: Header=BB26_9 Depth=1
	s_or_b64 exec, exec, s[28:29]
.LBB26_35:                              ;   in Loop: Header=BB26_9 Depth=1
	s_or_b64 exec, exec, s[16:17]
	s_waitcnt lgkmcnt(0)
	ds_read_u8 v9, v56
	s_waitcnt lgkmcnt(0)
	v_and_b32_e32 v10, 1, v9
	v_cmp_eq_u32_e64 s[6:7], 1, v10
	v_cmp_ne_u16_e32 vcc, 0, v9
	s_and_saveexec_b64 s[16:17], s[6:7]
	s_cbranch_execz .LBB26_8
; %bb.36:                               ;   in Loop: Header=BB26_9 Depth=1
	v_and_b32_e32 v9, vcc_lo, v41
	v_bcnt_u32_b32 v9, v9, 0
	v_add3_u32 v9, v40, v9, -1
	v_ashrrev_i32_e32 v10, 31, v9
	v_lshlrev_b64 v[10:11], 2, v[9:10]
	v_mov_b32_e32 v18, s25
	v_add_co_u32_e64 v10, s[6:7], s24, v10
	v_add_u32_e32 v12, v42, v59
	v_addc_co_u32_e64 v11, s[6:7], v18, v11, s[6:7]
	global_store_dword v[10:11], v12, off
	v_lshl_add_u32 v20, v9, 3, v9
	ds_read2_b64 v[9:12], v0 offset1:1
	v_lshlrev_b64 v[22:23], 4, v[20:21]
	v_mov_b32_e32 v18, s27
	v_add_co_u32_e64 v26, s[6:7], s26, v22
	v_addc_co_u32_e64 v27, s[6:7], v18, v23, s[6:7]
	ds_read2_b64 v[22:25], v44 offset1:1
	s_waitcnt lgkmcnt(1)
	global_store_dwordx4 v[26:27], v[9:12], off
	s_nop 0
	v_add_u32_e32 v9, 1, v20
	v_mov_b32_e32 v10, v21
	v_lshlrev_b64 v[9:10], 4, v[9:10]
	v_mov_b32_e32 v11, s27
	v_add_co_u32_e64 v34, s[6:7], s26, v9
	v_addc_co_u32_e64 v35, s[6:7], v11, v10, s[6:7]
	v_add_u32_e32 v9, 2, v20
	v_mov_b32_e32 v10, v21
	v_lshlrev_b64 v[9:10], 4, v[9:10]
	v_add_co_u32_e64 v59, s[6:7], s26, v9
	v_addc_co_u32_e64 v60, s[6:7], v11, v10, s[6:7]
	v_add_u32_e32 v9, 3, v20
	v_mov_b32_e32 v10, v21
	v_lshlrev_b64 v[9:10], 4, v[9:10]
	;; [unrolled: 5-line block ×6, first 2 shown]
	v_add_u32_e32 v20, 8, v20
	v_add_co_u32_e64 v69, s[6:7], s26, v9
	v_addc_co_u32_e64 v70, s[6:7], v11, v10, s[6:7]
	ds_read2_b64 v[9:12], v50 offset1:1
	ds_read2_b64 v[26:29], v51 offset1:1
	;; [unrolled: 1-line block ×3, first 2 shown]
	s_waitcnt lgkmcnt(2)
	global_store_dwordx4 v[34:35], v[9:12], off
	s_waitcnt lgkmcnt(1)
	global_store_dwordx4 v[59:60], v[26:29], off
	;; [unrolled: 2-line block ×3, first 2 shown]
	ds_read2_b64 v[9:12], v53 offset1:1
	ds_read2_b64 v[26:29], v54 offset1:1
	;; [unrolled: 1-line block ×4, first 2 shown]
	v_lshlrev_b64 v[71:72], 4, v[20:21]
	v_add_co_u32_e64 v71, s[6:7], s26, v71
	v_addc_co_u32_e64 v72, s[6:7], v18, v72, s[6:7]
	global_store_dwordx4 v[63:64], v[22:25], off
	s_waitcnt lgkmcnt(3)
	global_store_dwordx4 v[65:66], v[9:12], off
	s_waitcnt lgkmcnt(2)
	global_store_dwordx4 v[67:68], v[26:29], off
	s_waitcnt lgkmcnt(1)
	global_store_dwordx4 v[69:70], v[30:33], off
	s_waitcnt lgkmcnt(0)
	global_store_dwordx4 v[71:72], v[59:62], off
	s_branch .LBB26_8
.LBB26_37:
	s_endpgm
	.section	.rodata,"a",@progbits
	.p2align	6, 0x0
	.amdhsa_kernel _ZN9rocsparseL39bsrgeam_wf_per_row_multipass_2_3_kernelILj256ELj3ELj32E21rocsparse_complex_numIdEEEv20rocsparse_direction_iiiNS_24const_host_device_scalarIT2_EEPKiS8_PKS5_S6_S8_S8_SA_S8_PiPS5_21rocsparse_index_base_SD_SD_b
		.amdhsa_group_segment_fixed_size 37120
		.amdhsa_private_segment_fixed_size 16
		.amdhsa_kernarg_size 136
		.amdhsa_user_sgpr_count 8
		.amdhsa_user_sgpr_private_segment_buffer 1
		.amdhsa_user_sgpr_dispatch_ptr 0
		.amdhsa_user_sgpr_queue_ptr 0
		.amdhsa_user_sgpr_kernarg_segment_ptr 1
		.amdhsa_user_sgpr_dispatch_id 0
		.amdhsa_user_sgpr_flat_scratch_init 1
		.amdhsa_user_sgpr_private_segment_size 0
		.amdhsa_uses_dynamic_stack 0
		.amdhsa_system_sgpr_private_segment_wavefront_offset 1
		.amdhsa_system_sgpr_workgroup_id_x 1
		.amdhsa_system_sgpr_workgroup_id_y 0
		.amdhsa_system_sgpr_workgroup_id_z 0
		.amdhsa_system_sgpr_workgroup_info 0
		.amdhsa_system_vgpr_workitem_id 0
		.amdhsa_next_free_vgpr 129
		.amdhsa_next_free_sgpr 96
		.amdhsa_reserve_vcc 1
		.amdhsa_reserve_flat_scratch 1
		.amdhsa_float_round_mode_32 0
		.amdhsa_float_round_mode_16_64 0
		.amdhsa_float_denorm_mode_32 3
		.amdhsa_float_denorm_mode_16_64 3
		.amdhsa_dx10_clamp 1
		.amdhsa_ieee_mode 1
		.amdhsa_fp16_overflow 0
		.amdhsa_exception_fp_ieee_invalid_op 0
		.amdhsa_exception_fp_denorm_src 0
		.amdhsa_exception_fp_ieee_div_zero 0
		.amdhsa_exception_fp_ieee_overflow 0
		.amdhsa_exception_fp_ieee_underflow 0
		.amdhsa_exception_fp_ieee_inexact 0
		.amdhsa_exception_int_div_zero 0
	.end_amdhsa_kernel
	.section	.text._ZN9rocsparseL39bsrgeam_wf_per_row_multipass_2_3_kernelILj256ELj3ELj32E21rocsparse_complex_numIdEEEv20rocsparse_direction_iiiNS_24const_host_device_scalarIT2_EEPKiS8_PKS5_S6_S8_S8_SA_S8_PiPS5_21rocsparse_index_base_SD_SD_b,"axG",@progbits,_ZN9rocsparseL39bsrgeam_wf_per_row_multipass_2_3_kernelILj256ELj3ELj32E21rocsparse_complex_numIdEEEv20rocsparse_direction_iiiNS_24const_host_device_scalarIT2_EEPKiS8_PKS5_S6_S8_S8_SA_S8_PiPS5_21rocsparse_index_base_SD_SD_b,comdat
.Lfunc_end26:
	.size	_ZN9rocsparseL39bsrgeam_wf_per_row_multipass_2_3_kernelILj256ELj3ELj32E21rocsparse_complex_numIdEEEv20rocsparse_direction_iiiNS_24const_host_device_scalarIT2_EEPKiS8_PKS5_S6_S8_S8_SA_S8_PiPS5_21rocsparse_index_base_SD_SD_b, .Lfunc_end26-_ZN9rocsparseL39bsrgeam_wf_per_row_multipass_2_3_kernelILj256ELj3ELj32E21rocsparse_complex_numIdEEEv20rocsparse_direction_iiiNS_24const_host_device_scalarIT2_EEPKiS8_PKS5_S6_S8_S8_SA_S8_PiPS5_21rocsparse_index_base_SD_SD_b
                                        ; -- End function
	.set _ZN9rocsparseL39bsrgeam_wf_per_row_multipass_2_3_kernelILj256ELj3ELj32E21rocsparse_complex_numIdEEEv20rocsparse_direction_iiiNS_24const_host_device_scalarIT2_EEPKiS8_PKS5_S6_S8_S8_SA_S8_PiPS5_21rocsparse_index_base_SD_SD_b.num_vgpr, 124
	.set _ZN9rocsparseL39bsrgeam_wf_per_row_multipass_2_3_kernelILj256ELj3ELj32E21rocsparse_complex_numIdEEEv20rocsparse_direction_iiiNS_24const_host_device_scalarIT2_EEPKiS8_PKS5_S6_S8_S8_SA_S8_PiPS5_21rocsparse_index_base_SD_SD_b.num_agpr, 0
	.set _ZN9rocsparseL39bsrgeam_wf_per_row_multipass_2_3_kernelILj256ELj3ELj32E21rocsparse_complex_numIdEEEv20rocsparse_direction_iiiNS_24const_host_device_scalarIT2_EEPKiS8_PKS5_S6_S8_S8_SA_S8_PiPS5_21rocsparse_index_base_SD_SD_b.numbered_sgpr, 36
	.set _ZN9rocsparseL39bsrgeam_wf_per_row_multipass_2_3_kernelILj256ELj3ELj32E21rocsparse_complex_numIdEEEv20rocsparse_direction_iiiNS_24const_host_device_scalarIT2_EEPKiS8_PKS5_S6_S8_S8_SA_S8_PiPS5_21rocsparse_index_base_SD_SD_b.num_named_barrier, 0
	.set _ZN9rocsparseL39bsrgeam_wf_per_row_multipass_2_3_kernelILj256ELj3ELj32E21rocsparse_complex_numIdEEEv20rocsparse_direction_iiiNS_24const_host_device_scalarIT2_EEPKiS8_PKS5_S6_S8_S8_SA_S8_PiPS5_21rocsparse_index_base_SD_SD_b.private_seg_size, 16
	.set _ZN9rocsparseL39bsrgeam_wf_per_row_multipass_2_3_kernelILj256ELj3ELj32E21rocsparse_complex_numIdEEEv20rocsparse_direction_iiiNS_24const_host_device_scalarIT2_EEPKiS8_PKS5_S6_S8_S8_SA_S8_PiPS5_21rocsparse_index_base_SD_SD_b.uses_vcc, 1
	.set _ZN9rocsparseL39bsrgeam_wf_per_row_multipass_2_3_kernelILj256ELj3ELj32E21rocsparse_complex_numIdEEEv20rocsparse_direction_iiiNS_24const_host_device_scalarIT2_EEPKiS8_PKS5_S6_S8_S8_SA_S8_PiPS5_21rocsparse_index_base_SD_SD_b.uses_flat_scratch, 1
	.set _ZN9rocsparseL39bsrgeam_wf_per_row_multipass_2_3_kernelILj256ELj3ELj32E21rocsparse_complex_numIdEEEv20rocsparse_direction_iiiNS_24const_host_device_scalarIT2_EEPKiS8_PKS5_S6_S8_S8_SA_S8_PiPS5_21rocsparse_index_base_SD_SD_b.has_dyn_sized_stack, 0
	.set _ZN9rocsparseL39bsrgeam_wf_per_row_multipass_2_3_kernelILj256ELj3ELj32E21rocsparse_complex_numIdEEEv20rocsparse_direction_iiiNS_24const_host_device_scalarIT2_EEPKiS8_PKS5_S6_S8_S8_SA_S8_PiPS5_21rocsparse_index_base_SD_SD_b.has_recursion, 0
	.set _ZN9rocsparseL39bsrgeam_wf_per_row_multipass_2_3_kernelILj256ELj3ELj32E21rocsparse_complex_numIdEEEv20rocsparse_direction_iiiNS_24const_host_device_scalarIT2_EEPKiS8_PKS5_S6_S8_S8_SA_S8_PiPS5_21rocsparse_index_base_SD_SD_b.has_indirect_call, 0
	.section	.AMDGPU.csdata,"",@progbits
; Kernel info:
; codeLenInByte = 4664
; TotalNumSgprs: 42
; NumVgprs: 124
; ScratchSize: 16
; MemoryBound: 0
; FloatMode: 240
; IeeeMode: 1
; LDSByteSize: 37120 bytes/workgroup (compile time only)
; SGPRBlocks: 12
; VGPRBlocks: 32
; NumSGPRsForWavesPerEU: 102
; NumVGPRsForWavesPerEU: 129
; Occupancy: 1
; WaveLimiterHint : 1
; COMPUTE_PGM_RSRC2:SCRATCH_EN: 1
; COMPUTE_PGM_RSRC2:USER_SGPR: 8
; COMPUTE_PGM_RSRC2:TRAP_HANDLER: 0
; COMPUTE_PGM_RSRC2:TGID_X_EN: 1
; COMPUTE_PGM_RSRC2:TGID_Y_EN: 0
; COMPUTE_PGM_RSRC2:TGID_Z_EN: 0
; COMPUTE_PGM_RSRC2:TIDIG_COMP_CNT: 0
	.section	.text._ZN9rocsparseL39bsrgeam_wf_per_row_multipass_2_3_kernelILj256ELj3ELj64E21rocsparse_complex_numIdEEEv20rocsparse_direction_iiiNS_24const_host_device_scalarIT2_EEPKiS8_PKS5_S6_S8_S8_SA_S8_PiPS5_21rocsparse_index_base_SD_SD_b,"axG",@progbits,_ZN9rocsparseL39bsrgeam_wf_per_row_multipass_2_3_kernelILj256ELj3ELj64E21rocsparse_complex_numIdEEEv20rocsparse_direction_iiiNS_24const_host_device_scalarIT2_EEPKiS8_PKS5_S6_S8_S8_SA_S8_PiPS5_21rocsparse_index_base_SD_SD_b,comdat
	.globl	_ZN9rocsparseL39bsrgeam_wf_per_row_multipass_2_3_kernelILj256ELj3ELj64E21rocsparse_complex_numIdEEEv20rocsparse_direction_iiiNS_24const_host_device_scalarIT2_EEPKiS8_PKS5_S6_S8_S8_SA_S8_PiPS5_21rocsparse_index_base_SD_SD_b ; -- Begin function _ZN9rocsparseL39bsrgeam_wf_per_row_multipass_2_3_kernelILj256ELj3ELj64E21rocsparse_complex_numIdEEEv20rocsparse_direction_iiiNS_24const_host_device_scalarIT2_EEPKiS8_PKS5_S6_S8_S8_SA_S8_PiPS5_21rocsparse_index_base_SD_SD_b
	.p2align	8
	.type	_ZN9rocsparseL39bsrgeam_wf_per_row_multipass_2_3_kernelILj256ELj3ELj64E21rocsparse_complex_numIdEEEv20rocsparse_direction_iiiNS_24const_host_device_scalarIT2_EEPKiS8_PKS5_S6_S8_S8_SA_S8_PiPS5_21rocsparse_index_base_SD_SD_b,@function
_ZN9rocsparseL39bsrgeam_wf_per_row_multipass_2_3_kernelILj256ELj3ELj64E21rocsparse_complex_numIdEEEv20rocsparse_direction_iiiNS_24const_host_device_scalarIT2_EEPKiS8_PKS5_S6_S8_S8_SA_S8_PiPS5_21rocsparse_index_base_SD_SD_b: ; @_ZN9rocsparseL39bsrgeam_wf_per_row_multipass_2_3_kernelILj256ELj3ELj64E21rocsparse_complex_numIdEEEv20rocsparse_direction_iiiNS_24const_host_device_scalarIT2_EEPKiS8_PKS5_S6_S8_S8_SA_S8_PiPS5_21rocsparse_index_base_SD_SD_b
; %bb.0:
	s_add_u32 flat_scratch_lo, s6, s9
	s_load_dwordx4 s[12:15], s[4:5], 0x78
	s_load_dwordx4 s[16:19], s[4:5], 0x10
	s_addc_u32 flat_scratch_hi, s7, 0
	s_add_u32 s0, s0, s9
	s_addc_u32 s1, s1, 0
	s_waitcnt lgkmcnt(0)
	s_bitcmp1_b32 s15, 0
	s_cselect_b64 s[6:7], -1, 0
	s_mov_b64 s[10:11], src_private_base
	v_mov_b32_e32 v1, s17
	s_and_b64 vcc, s[6:7], exec
	buffer_store_dword v1, off, s[0:3], 0 offset:4
	v_mov_b32_e32 v1, s16
	s_cselect_b32 s9, s11, s17
	s_cselect_b32 s10, 0, s16
	buffer_store_dword v1, off, s[0:3], 0
	v_mov_b32_e32 v1, s10
	v_mov_b32_e32 v2, s9
	flat_load_dwordx2 v[13:14], v[1:2]
	v_mov_b32_e32 v15, s18
	v_mov_b32_e32 v16, s19
	s_cbranch_vccnz .LBB27_2
; %bb.1:
	v_mov_b32_e32 v1, s16
	v_mov_b32_e32 v2, s17
	flat_load_dwordx2 v[15:16], v[1:2] offset:8
.LBB27_2:
	s_load_dwordx4 s[16:19], s[4:5], 0x0
	s_lshl_b32 s8, s8, 2
	v_lshrrev_b32_e32 v12, 6, v0
	s_and_b32 s8, s8, 0x3fffffc
	v_or_b32_e32 v1, s8, v12
	s_waitcnt lgkmcnt(0)
	v_cmp_gt_i32_e32 vcc, s17, v1
	s_and_saveexec_b64 s[8:9], vcc
	s_cbranch_execz .LBB27_37
; %bb.3:
	s_load_dwordx4 s[8:11], s[4:5], 0x20
	s_load_dwordx2 s[24:25], s[4:5], 0x38
	s_load_dwordx2 s[26:27], s[4:5], 0x60
	s_load_dwordx4 s[20:23], s[4:5], 0x48
	s_add_u32 s15, s4, 56
	s_addc_u32 s17, s5, 0
	s_and_b64 s[6:7], s[6:7], exec
	s_waitcnt lgkmcnt(0)
	s_cselect_b32 s6, s17, s25
	s_cselect_b32 s7, s15, s24
	v_lshlrev_b32_e32 v11, 2, v1
	v_mov_b32_e32 v9, s7
	v_mov_b32_e32 v10, s6
	global_load_dwordx2 v[5:6], v11, s[8:9]
	global_load_dwordx2 v[7:8], v11, s[20:21]
	global_load_dword v17, v11, s[26:27]
	flat_load_dwordx4 v[1:4], v[9:10]
	s_waitcnt vmcnt(0)
	v_subrev_u32_e32 v9, s12, v5
	v_cmp_lt_i32_e32 vcc, v5, v6
	v_mov_b32_e32 v5, s18
	s_and_saveexec_b64 s[6:7], vcc
	s_cbranch_execz .LBB27_5
; %bb.4:
	v_ashrrev_i32_e32 v10, 31, v9
	v_lshlrev_b64 v[10:11], 2, v[9:10]
	v_mov_b32_e32 v5, s11
	v_add_co_u32_e32 v10, vcc, s10, v10
	v_addc_co_u32_e32 v11, vcc, v5, v11, vcc
	global_load_dword v5, v[10:11], off
	s_waitcnt vmcnt(0)
	v_subrev_u32_e32 v5, s12, v5
.LBB27_5:
	s_or_b64 exec, exec, s[6:7]
	s_load_dwordx4 s[24:27], s[4:5], 0x68
	s_load_dwordx2 s[8:9], s[4:5], 0x58
	s_load_dwordx2 s[20:21], s[4:5], 0x30
	v_subrev_u32_e32 v10, s13, v7
	v_cmp_lt_i32_e32 vcc, v7, v8
	v_mov_b32_e32 v7, s18
	s_and_saveexec_b64 s[4:5], vcc
	s_cbranch_execz .LBB27_7
; %bb.6:
	v_ashrrev_i32_e32 v11, 31, v10
	v_lshlrev_b64 v[18:19], 2, v[10:11]
	v_mov_b32_e32 v7, s23
	v_add_co_u32_e32 v18, vcc, s22, v18
	v_addc_co_u32_e32 v19, vcc, v7, v19, vcc
	global_load_dword v7, v[18:19], off
	s_waitcnt vmcnt(0)
	v_subrev_u32_e32 v7, s13, v7
.LBB27_7:
	s_or_b64 exec, exec, s[4:5]
	v_min_i32_e32 v62, v7, v5
	v_mbcnt_lo_u32_b32 v5, -1, 0
	v_subrev_u32_e32 v41, s12, v6
	v_and_b32_e32 v6, 63, v0
	v_mbcnt_hi_u32_b32 v5, -1, v5
	v_subrev_u32_e32 v42, s13, v8
	v_and_b32_e32 v7, 64, v5
	v_xor_b32_e32 v8, 63, v6
	v_add_u32_e32 v7, 64, v7
	v_lshrrev_b64 v[21:22], v8, -1
	v_xor_b32_e32 v8, 32, v5
	v_cmp_lt_i32_e32 vcc, v8, v7
	v_xor_b32_e32 v20, 16, v5
	v_cndmask_b32_e32 v8, v5, v8, vcc
	v_cmp_lt_i32_e32 vcc, v20, v7
	v_cndmask_b32_e32 v20, v5, v20, vcc
	v_lshlrev_b32_e32 v48, 2, v20
	v_xor_b32_e32 v20, 8, v5
	v_cmp_lt_i32_e32 vcc, v20, v7
	v_cndmask_b32_e32 v20, v5, v20, vcc
	v_lshlrev_b32_e32 v49, 2, v20
	v_xor_b32_e32 v20, 4, v5
	;; [unrolled: 4-line block ×3, first 2 shown]
	v_cmp_lt_i32_e32 vcc, v20, v7
	v_cndmask_b32_e32 v20, v5, v20, vcc
	v_and_b32_e32 v11, 0xc0, v0
	s_movk_i32 s4, 0x2400
	v_mul_u32_u24_e32 v0, 0x90, v6
	s_cmp_lg_u32 s16, 0
	v_lshlrev_b32_e32 v51, 2, v20
	v_xor_b32_e32 v20, 1, v5
	v_mad_u32_u24 v0, v12, s4, v0
	s_mov_b32 s4, 0
	s_cselect_b64 s[28:29], -1, 0
	s_cmp_eq_u32 s16, 0
	v_cmp_lt_i32_e32 vcc, v20, v7
	v_or_b32_e32 v39, 0x9000, v11
	v_mul_u32_u24_e32 v40, 0x2400, v12
	v_subrev_u32_e32 v43, s14, v17
	v_add_u32_e32 v17, v9, v6
	v_add_u32_e32 v19, v10, v6
	v_lshlrev_b32_e32 v45, 2, v8
	v_add_u32_e32 v8, 16, v0
	v_add_u32_e32 v9, 32, v0
	;; [unrolled: 1-line block ×4, first 2 shown]
	v_cndmask_b32_e32 v5, v5, v20, vcc
	s_cselect_b64 vcc, -1, 0
	s_mov_b32 s7, s4
	v_add_u32_e32 v44, s14, v6
	v_add_u32_e32 v11, 0x50, v0
	;; [unrolled: 1-line block ×3, first 2 shown]
	v_lshlrev_b32_e32 v52, 2, v5
	v_cndmask_b32_e32 v53, v10, v8, vcc
	v_cndmask_b32_e32 v54, v12, v9, vcc
	;; [unrolled: 1-line block ×4, first 2 shown]
	v_add_u32_e32 v59, v39, v6
	s_mov_b32 s5, s4
	s_mov_b32 s6, s4
	v_mov_b32_e32 v8, s7
	v_cndmask_b32_e64 v9, 0, 1, s[28:29]
	s_movk_i32 s19, 0x90
	v_add_u32_e32 v46, 64, v0
	v_add_u32_e32 v47, 0x80, v0
	v_cndmask_b32_e32 v56, v18, v11, vcc
	v_cndmask_b32_e32 v58, v11, v18, vcc
	s_mov_b64 s[14:15], 0
	v_mov_b32_e32 v24, 0
	v_mov_b32_e32 v7, s6
	;; [unrolled: 1-line block ×5, first 2 shown]
	v_cmp_ne_u32_e64 s[4:5], 1, v9
	s_branch .LBB27_9
.LBB27_8:                               ;   in Loop: Header=BB27_9 Depth=1
	s_or_b64 exec, exec, s[16:17]
	ds_bpermute_b32 v9, v45, v61
	s_bcnt1_i32_b64 s6, vcc
	v_add_u32_e32 v43, s6, v43
	s_waitcnt lgkmcnt(0)
	v_min_i32_e32 v9, v9, v61
	ds_bpermute_b32 v10, v48, v9
	s_waitcnt lgkmcnt(0)
	v_min_i32_e32 v9, v10, v9
	ds_bpermute_b32 v10, v49, v9
	;; [unrolled: 3-line block ×5, first 2 shown]
	s_waitcnt lgkmcnt(0)
	v_min_i32_e32 v62, v10, v9
	v_cmp_le_i32_e32 vcc, s18, v62
	s_or_b64 s[14:15], vcc, s[14:15]
	s_andn2_b64 exec, exec, s[14:15]
	s_cbranch_execz .LBB27_37
.LBB27_9:                               ; =>This Loop Header: Depth=1
                                        ;     Child Loop BB27_12 Depth 2
                                        ;     Child Loop BB27_25 Depth 2
	v_cmp_lt_i32_e32 vcc, v17, v41
	v_mov_b32_e32 v61, s18
	ds_write_b8 v59, v24
	ds_write_b128 v0, v[5:8]
	ds_write_b128 v0, v[5:8] offset:16
	ds_write_b128 v0, v[5:8] offset:32
	;; [unrolled: 1-line block ×8, first 2 shown]
	s_waitcnt lgkmcnt(0)
	s_and_saveexec_b64 s[16:17], vcc
	s_cbranch_execz .LBB27_22
; %bb.10:                               ;   in Loop: Header=BB27_9 Depth=1
	v_mad_u64_u32 v[9:10], s[6:7], v17, 9, 8
	s_mov_b64 s[28:29], 0
	v_mov_b32_e32 v61, s18
	s_branch .LBB27_12
.LBB27_11:                              ;   in Loop: Header=BB27_12 Depth=2
	s_or_b64 exec, exec, s[34:35]
	s_and_b64 s[6:7], exec, s[30:31]
	s_or_b64 s[28:29], s[6:7], s[28:29]
	s_andn2_b64 exec, exec, s[28:29]
	s_cbranch_execz .LBB27_21
.LBB27_12:                              ;   Parent Loop BB27_9 Depth=1
                                        ; =>  This Inner Loop Header: Depth=2
	v_ashrrev_i32_e32 v18, 31, v17
	v_lshlrev_b64 v[10:11], 2, v[17:18]
	v_mov_b32_e32 v12, s11
	v_add_co_u32_e32 v10, vcc, s10, v10
	v_addc_co_u32_e32 v11, vcc, v12, v11, vcc
	global_load_dword v10, v[10:11], off
	s_waitcnt vmcnt(0)
	v_subrev_u32_e32 v11, s12, v10
	v_sub_u32_e32 v10, v11, v62
	v_cmp_gt_u32_e64 s[6:7], 64, v10
	v_cmp_lt_u32_e32 vcc, 63, v10
	s_and_saveexec_b64 s[30:31], vcc
	s_xor_b64 s[30:31], exec, s[30:31]
; %bb.13:                               ;   in Loop: Header=BB27_12 Depth=2
	v_min_i32_e32 v61, v11, v61
                                        ; implicit-def: $vgpr10
; %bb.14:                               ;   in Loop: Header=BB27_12 Depth=2
	s_andn2_saveexec_b64 s[30:31], s[30:31]
	s_cbranch_execz .LBB27_19
; %bb.15:                               ;   in Loop: Header=BB27_12 Depth=2
	v_add_u32_e32 v23, -8, v9
	v_lshlrev_b64 v[11:12], 4, v[23:24]
	v_mov_b32_e32 v18, s21
	v_add_co_u32_e32 v11, vcc, s20, v11
	v_addc_co_u32_e32 v12, vcc, v18, v12, vcc
	global_load_dwordx4 v[26:29], v[11:12], off
	v_add_u32_e32 v18, v39, v10
	v_mul_lo_u32 v10, v10, s19
	s_mov_b64 s[34:35], -1
	s_and_b64 vcc, exec, s[4:5]
	v_add_u32_e32 v25, -2, v9
	v_add_u32_e32 v33, -7, v9
	;; [unrolled: 1-line block ×3, first 2 shown]
	ds_write_b8 v18, v60
	v_add_u32_e32 v23, -5, v9
	v_add_u32_e32 v18, v40, v10
	s_waitcnt vmcnt(0)
	v_mul_f64 v[11:12], v[28:29], -v[15:16]
	v_mul_f64 v[28:29], v[13:14], v[28:29]
	v_fma_f64 v[34:35], v[13:14], v[26:27], v[11:12]
	v_fma_f64 v[36:37], v[15:16], v[26:27], v[28:29]
	v_add_u32_e32 v29, -4, v9
	v_add_u32_e32 v11, -1, v9
	;; [unrolled: 1-line block ×3, first 2 shown]
	ds_write_b128 v18, v[34:37]
	s_cbranch_vccnz .LBB27_17
; %bb.16:                               ;   in Loop: Header=BB27_12 Depth=2
	v_lshlrev_b64 v[34:35], 4, v[23:24]
	v_mov_b32_e32 v10, s21
	v_add_co_u32_e32 v67, vcc, s20, v34
	v_mov_b32_e32 v26, v24
	v_addc_co_u32_e32 v68, vcc, v10, v35, vcc
	v_lshlrev_b64 v[34:35], 4, v[25:26]
	v_mov_b32_e32 v30, v24
	v_add_co_u32_e32 v69, vcc, s20, v34
	v_mov_b32_e32 v34, v24
	v_addc_co_u32_e32 v70, vcc, v10, v35, vcc
	global_load_dwordx4 v[35:38], v[67:68], off
	global_load_dwordx4 v[63:66], v[69:70], off
	v_lshlrev_b64 v[67:68], 4, v[33:34]
	v_mov_b32_e32 v12, v24
	v_add_co_u32_e32 v75, vcc, s20, v67
	v_addc_co_u32_e32 v76, vcc, v10, v68, vcc
	v_lshlrev_b64 v[67:68], 4, v[29:30]
	v_mov_b32_e32 v32, v24
	v_add_co_u32_e32 v77, vcc, s20, v67
	v_addc_co_u32_e32 v78, vcc, v10, v68, vcc
	global_load_dwordx4 v[67:70], v[75:76], off
	global_load_dwordx4 v[71:74], v[77:78], off
	v_lshlrev_b64 v[75:76], 4, v[11:12]
	v_mov_b32_e32 v28, v24
	v_add_co_u32_e32 v83, vcc, s20, v75
	v_addc_co_u32_e32 v84, vcc, v10, v76, vcc
	v_lshlrev_b64 v[75:76], 4, v[31:32]
	s_mov_b64 s[34:35], 0
	v_add_co_u32_e32 v85, vcc, s20, v75
	v_addc_co_u32_e32 v86, vcc, v10, v76, vcc
	global_load_dwordx4 v[75:78], v[83:84], off
	global_load_dwordx4 v[79:82], v[85:86], off
	v_lshlrev_b64 v[83:84], 4, v[27:28]
	v_add_co_u32_e32 v83, vcc, s20, v83
	v_addc_co_u32_e32 v84, vcc, v10, v84, vcc
	v_mov_b32_e32 v10, v24
	v_lshlrev_b64 v[87:88], 4, v[9:10]
	v_mov_b32_e32 v10, s21
	v_add_co_u32_e32 v87, vcc, s20, v87
	global_load_dwordx4 v[83:86], v[83:84], off
	v_addc_co_u32_e32 v88, vcc, v10, v88, vcc
	global_load_dwordx4 v[87:90], v[87:88], off
	s_waitcnt vmcnt(7)
	v_mul_f64 v[91:92], v[37:38], -v[15:16]
	v_mul_f64 v[37:38], v[13:14], v[37:38]
	s_waitcnt vmcnt(6)
	v_mul_f64 v[93:94], v[65:66], -v[15:16]
	v_mul_f64 v[65:66], v[13:14], v[65:66]
	;; [unrolled: 3-line block ×8, first 2 shown]
	v_fma_f64 v[89:90], v[13:14], v[35:36], v[91:92]
	v_fma_f64 v[91:92], v[15:16], v[35:36], v[37:38]
	;; [unrolled: 1-line block ×16, first 2 shown]
	ds_write_b128 v18, v[89:92] offset:16
	ds_write_b128 v18, v[34:37] offset:32
	;; [unrolled: 1-line block ×8, first 2 shown]
.LBB27_17:                              ;   in Loop: Header=BB27_12 Depth=2
	s_andn2_b64 vcc, exec, s[34:35]
	s_cbranch_vccnz .LBB27_19
; %bb.18:                               ;   in Loop: Header=BB27_12 Depth=2
	v_mov_b32_e32 v34, v24
	v_lshlrev_b64 v[32:33], 4, v[33:34]
	v_mov_b32_e32 v10, s21
	v_add_co_u32_e32 v63, vcc, s20, v32
	v_mov_b32_e32 v32, v24
	v_lshlrev_b64 v[30:31], 4, v[31:32]
	v_addc_co_u32_e32 v64, vcc, v10, v33, vcc
	v_add_co_u32_e32 v65, vcc, s20, v30
	v_addc_co_u32_e32 v66, vcc, v10, v31, vcc
	global_load_dwordx4 v[31:34], v[63:64], off
	global_load_dwordx4 v[35:38], v[65:66], off
	v_lshlrev_b64 v[63:64], 4, v[23:24]
	v_mov_b32_e32 v30, v24
	v_add_co_u32_e32 v71, vcc, s20, v63
	v_lshlrev_b64 v[28:29], 4, v[29:30]
	v_addc_co_u32_e32 v72, vcc, v10, v64, vcc
	v_add_co_u32_e32 v28, vcc, s20, v28
	v_addc_co_u32_e32 v29, vcc, v10, v29, vcc
	global_load_dwordx4 v[63:66], v[71:72], off
	global_load_dwordx4 v[67:70], v[28:29], off
	v_mov_b32_e32 v28, v24
	v_lshlrev_b64 v[26:27], 4, v[27:28]
	v_mov_b32_e32 v12, v24
	v_add_co_u32_e32 v29, vcc, s20, v26
	v_mov_b32_e32 v26, v24
	v_lshlrev_b64 v[25:26], 4, v[25:26]
	v_addc_co_u32_e32 v30, vcc, v10, v27, vcc
	v_add_co_u32_e32 v75, vcc, s20, v25
	v_addc_co_u32_e32 v76, vcc, v10, v26, vcc
	v_lshlrev_b64 v[10:11], 4, v[11:12]
	v_mov_b32_e32 v12, s21
	v_add_co_u32_e32 v10, vcc, s20, v10
	v_addc_co_u32_e32 v11, vcc, v12, v11, vcc
	global_load_dwordx4 v[25:28], v[29:30], off
	global_load_dwordx4 v[71:74], v[75:76], off
	s_waitcnt vmcnt(4)
	v_mul_f64 v[83:84], v[37:38], -v[15:16]
	global_load_dwordx4 v[75:78], v[10:11], off
	v_mov_b32_e32 v10, v24
	v_lshlrev_b64 v[10:11], 4, v[9:10]
	v_mul_f64 v[37:38], v[13:14], v[37:38]
	v_add_co_u32_e32 v10, vcc, s20, v10
	v_addc_co_u32_e32 v11, vcc, v12, v11, vcc
	global_load_dwordx4 v[79:82], v[10:11], off
	s_waitcnt vmcnt(5)
	v_mul_f64 v[10:11], v[65:66], -v[15:16]
	v_mul_f64 v[29:30], v[13:14], v[65:66]
	v_mul_f64 v[65:66], v[33:34], -v[15:16]
	v_mul_f64 v[33:34], v[13:14], v[33:34]
	s_waitcnt vmcnt(4)
	v_mul_f64 v[85:86], v[69:70], -v[15:16]
	v_mul_f64 v[69:70], v[13:14], v[69:70]
	v_fma_f64 v[29:30], v[15:16], v[63:64], v[29:30]
	s_waitcnt vmcnt(3)
	v_mul_f64 v[87:88], v[27:28], -v[15:16]
	v_mul_f64 v[89:90], v[13:14], v[27:28]
	s_waitcnt vmcnt(2)
	v_mul_f64 v[91:92], v[73:74], -v[15:16]
	v_mul_f64 v[73:74], v[13:14], v[73:74]
	v_fma_f64 v[27:28], v[13:14], v[63:64], v[10:11]
	v_fma_f64 v[63:64], v[13:14], v[31:32], v[65:66]
	;; [unrolled: 1-line block ×10, first 2 shown]
	s_waitcnt vmcnt(1)
	v_mul_f64 v[93:94], v[77:78], -v[15:16]
	v_mul_f64 v[77:78], v[13:14], v[77:78]
	s_waitcnt vmcnt(0)
	v_mul_f64 v[95:96], v[81:82], -v[15:16]
	v_mul_f64 v[97:98], v[13:14], v[81:82]
	v_fma_f64 v[81:82], v[13:14], v[71:72], v[91:92]
	v_fma_f64 v[71:72], v[13:14], v[75:76], v[93:94]
	;; [unrolled: 1-line block ×5, first 2 shown]
	ds_write_b128 v18, v[27:30] offset:48
	ds_write_b128 v18, v[63:66] offset:16
	ds_write_b128 v18, v[31:34] offset:32
	ds_write_b128 v18, v[35:38] offset:64
	ds_write_b128 v18, v[67:70] offset:80
	ds_write_b128 v18, v[81:84] offset:96
	ds_write_b128 v18, v[71:74] offset:112
	ds_write_b128 v18, v[75:78] offset:128
.LBB27_19:                              ;   in Loop: Header=BB27_12 Depth=2
	s_or_b64 exec, exec, s[30:31]
	s_mov_b64 s[30:31], -1
	s_and_saveexec_b64 s[34:35], s[6:7]
	s_cbranch_execz .LBB27_11
; %bb.20:                               ;   in Loop: Header=BB27_12 Depth=2
	v_add_u32_e32 v17, 64, v17
	v_cmp_ge_i32_e32 vcc, v17, v41
	v_add_u32_e32 v9, 0x240, v9
	s_orn2_b64 s[30:31], vcc, exec
	s_branch .LBB27_11
.LBB27_21:                              ;   in Loop: Header=BB27_9 Depth=1
	s_or_b64 exec, exec, s[28:29]
.LBB27_22:                              ;   in Loop: Header=BB27_9 Depth=1
	s_or_b64 exec, exec, s[16:17]
	v_cmp_lt_i32_e32 vcc, v19, v42
	s_waitcnt lgkmcnt(0)
	s_and_saveexec_b64 s[16:17], vcc
	s_cbranch_execz .LBB27_35
; %bb.23:                               ;   in Loop: Header=BB27_9 Depth=1
	v_mad_u64_u32 v[25:26], s[6:7], v19, 9, 8
	s_mov_b64 s[28:29], 0
	s_branch .LBB27_25
.LBB27_24:                              ;   in Loop: Header=BB27_25 Depth=2
	s_or_b64 exec, exec, s[34:35]
	s_and_b64 s[6:7], exec, s[30:31]
	s_or_b64 s[28:29], s[6:7], s[28:29]
	s_andn2_b64 exec, exec, s[28:29]
	s_cbranch_execz .LBB27_34
.LBB27_25:                              ;   Parent Loop BB27_9 Depth=1
                                        ; =>  This Inner Loop Header: Depth=2
	v_ashrrev_i32_e32 v20, 31, v19
	s_waitcnt lgkmcnt(2)
	v_lshlrev_b64 v[9:10], 2, v[19:20]
	v_mov_b32_e32 v11, s23
	v_add_co_u32_e32 v9, vcc, s22, v9
	v_addc_co_u32_e32 v10, vcc, v11, v10, vcc
	global_load_dword v9, v[9:10], off
	s_waitcnt vmcnt(0)
	v_subrev_u32_e32 v9, s13, v9
	v_sub_u32_e32 v20, v9, v62
	v_cmp_gt_u32_e64 s[6:7], 64, v20
	v_cmp_lt_u32_e32 vcc, 63, v20
	s_and_saveexec_b64 s[30:31], vcc
	s_xor_b64 s[30:31], exec, s[30:31]
; %bb.26:                               ;   in Loop: Header=BB27_25 Depth=2
	v_min_i32_e32 v61, v9, v61
                                        ; implicit-def: $vgpr20
; %bb.27:                               ;   in Loop: Header=BB27_25 Depth=2
	s_andn2_saveexec_b64 s[30:31], s[30:31]
	s_cbranch_execz .LBB27_32
; %bb.28:                               ;   in Loop: Header=BB27_25 Depth=2
	v_add_u32_e32 v23, -8, v25
	v_lshlrev_b64 v[9:10], 4, v[23:24]
	v_mov_b32_e32 v11, s9
	v_add_co_u32_e32 v9, vcc, s8, v9
	v_addc_co_u32_e32 v10, vcc, v11, v10, vcc
	global_load_dwordx4 v[26:29], v[9:10], off
	v_mul_lo_u32 v9, v20, s19
	v_add_u32_e32 v20, v39, v20
	s_mov_b64 s[34:35], -1
	s_and_b64 vcc, exec, s[4:5]
	v_add_u32_e32 v18, v40, v9
	ds_read_b128 v[30:33], v18
	ds_read_b128 v[9:12], v18 offset:16
	v_add_u32_e32 v37, -7, v25
	v_add_u32_e32 v35, -6, v25
	;; [unrolled: 1-line block ×3, first 2 shown]
	ds_write_b8 v20, v60
	s_waitcnt vmcnt(0) lgkmcnt(2)
	v_fma_f64 v[30:31], v[1:2], v[26:27], v[30:31]
	v_fma_f64 v[26:27], v[3:4], v[26:27], v[32:33]
	v_add_u32_e32 v33, -4, v25
	v_fma_f64 v[63:64], -v[3:4], v[28:29], v[30:31]
	v_fma_f64 v[65:66], v[1:2], v[28:29], v[26:27]
	v_add_u32_e32 v29, -2, v25
	v_add_u32_e32 v27, -1, v25
	;; [unrolled: 1-line block ×3, first 2 shown]
	ds_write_b128 v18, v[63:66]
	s_cbranch_vccnz .LBB27_30
; %bb.29:                               ;   in Loop: Header=BB27_25 Depth=2
	v_lshlrev_b64 v[63:64], 4, v[23:24]
	v_mov_b32_e32 v20, s9
	v_add_co_u32_e32 v71, vcc, s8, v63
	v_mov_b32_e32 v30, v24
	v_addc_co_u32_e32 v72, vcc, v20, v64, vcc
	v_lshlrev_b64 v[63:64], 4, v[29:30]
	v_mov_b32_e32 v38, v24
	v_add_co_u32_e32 v73, vcc, s8, v63
	v_addc_co_u32_e32 v74, vcc, v20, v64, vcc
	global_load_dwordx4 v[63:66], v[71:72], off
	global_load_dwordx4 v[67:70], v[73:74], off
	v_lshlrev_b64 v[71:72], 4, v[37:38]
	v_mov_b32_e32 v34, v24
	v_add_co_u32_e32 v79, vcc, s8, v71
	v_addc_co_u32_e32 v80, vcc, v20, v72, vcc
	v_lshlrev_b64 v[71:72], 4, v[33:34]
	v_mov_b32_e32 v28, v24
	v_add_co_u32_e32 v81, vcc, s8, v71
	v_addc_co_u32_e32 v82, vcc, v20, v72, vcc
	global_load_dwordx4 v[71:74], v[79:80], off
	global_load_dwordx4 v[75:78], v[81:82], off
	v_lshlrev_b64 v[79:80], 4, v[27:28]
	v_mov_b32_e32 v36, v24
	v_add_co_u32_e32 v87, vcc, s8, v79
	;; [unrolled: 10-line block ×3, first 2 shown]
	v_lshlrev_b64 v[91:92], 4, v[25:26]
	v_addc_co_u32_e32 v88, vcc, v20, v88, vcc
	v_add_co_u32_e32 v91, vcc, s8, v91
	global_load_dwordx4 v[87:90], v[87:88], off
	v_addc_co_u32_e32 v92, vcc, v20, v92, vcc
	global_load_dwordx4 v[91:94], v[91:92], off
	ds_read_b128 v[95:98], v18 offset:32
	ds_read_b128 v[99:102], v18 offset:48
	;; [unrolled: 1-line block ×7, first 2 shown]
	s_mov_b64 s[34:35], 0
	s_waitcnt vmcnt(7) lgkmcnt(9)
	v_fma_f64 v[123:124], v[1:2], v[63:64], v[9:10]
	s_waitcnt vmcnt(6) lgkmcnt(6)
	v_fma_f64 v[95:96], v[1:2], v[67:68], v[95:96]
	v_fma_f64 v[125:126], v[3:4], v[63:64], v[11:12]
	;; [unrolled: 1-line block ×3, first 2 shown]
	v_fma_f64 v[63:64], -v[3:4], v[65:66], v[123:124]
	v_fma_f64 v[67:68], -v[3:4], v[69:70], v[95:96]
	v_fma_f64 v[65:66], v[1:2], v[65:66], v[125:126]
	v_fma_f64 v[69:70], v[1:2], v[69:70], v[97:98]
	s_waitcnt vmcnt(5) lgkmcnt(5)
	v_fma_f64 v[99:100], v[1:2], v[71:72], v[99:100]
	v_fma_f64 v[101:102], v[3:4], v[71:72], v[101:102]
	s_waitcnt vmcnt(4) lgkmcnt(4)
	v_fma_f64 v[103:104], v[1:2], v[75:76], v[103:104]
	v_fma_f64 v[105:106], v[3:4], v[75:76], v[105:106]
	v_fma_f64 v[71:72], -v[3:4], v[73:74], v[99:100]
	v_fma_f64 v[73:74], v[1:2], v[73:74], v[101:102]
	v_fma_f64 v[75:76], -v[3:4], v[77:78], v[103:104]
	v_fma_f64 v[77:78], v[1:2], v[77:78], v[105:106]
	s_waitcnt vmcnt(3) lgkmcnt(3)
	v_fma_f64 v[107:108], v[1:2], v[79:80], v[107:108]
	v_fma_f64 v[109:110], v[3:4], v[79:80], v[109:110]
	s_waitcnt vmcnt(2) lgkmcnt(2)
	v_fma_f64 v[111:112], v[1:2], v[83:84], v[111:112]
	v_fma_f64 v[113:114], v[3:4], v[83:84], v[113:114]
	v_fma_f64 v[79:80], -v[3:4], v[81:82], v[107:108]
	v_fma_f64 v[81:82], v[1:2], v[81:82], v[109:110]
	v_fma_f64 v[83:84], -v[3:4], v[85:86], v[111:112]
	s_waitcnt vmcnt(1) lgkmcnt(1)
	v_fma_f64 v[115:116], v[1:2], v[87:88], v[115:116]
	v_fma_f64 v[117:118], v[3:4], v[87:88], v[117:118]
	;; [unrolled: 1-line block ×3, first 2 shown]
	s_waitcnt vmcnt(0) lgkmcnt(0)
	v_fma_f64 v[119:120], v[1:2], v[91:92], v[119:120]
	v_fma_f64 v[95:96], v[3:4], v[91:92], v[121:122]
	v_fma_f64 v[87:88], -v[3:4], v[89:90], v[115:116]
	v_fma_f64 v[89:90], v[1:2], v[89:90], v[117:118]
	v_fma_f64 v[91:92], -v[3:4], v[93:94], v[119:120]
	v_fma_f64 v[93:94], v[1:2], v[93:94], v[95:96]
	ds_write_b128 v18, v[63:66] offset:16
	ds_write_b128 v18, v[67:70] offset:32
	;; [unrolled: 1-line block ×8, first 2 shown]
.LBB27_30:                              ;   in Loop: Header=BB27_25 Depth=2
	s_andn2_b64 vcc, exec, s[34:35]
	s_cbranch_vccnz .LBB27_32
; %bb.31:                               ;   in Loop: Header=BB27_25 Depth=2
	v_mov_b32_e32 v38, v24
	v_lshlrev_b64 v[36:37], 4, v[37:38]
	v_mov_b32_e32 v20, s9
	v_add_co_u32_e32 v67, vcc, s8, v36
	v_mov_b32_e32 v36, v24
	v_lshlrev_b64 v[34:35], 4, v[35:36]
	v_addc_co_u32_e32 v68, vcc, v20, v37, vcc
	v_add_co_u32_e32 v69, vcc, s8, v34
	v_addc_co_u32_e32 v70, vcc, v20, v35, vcc
	global_load_dwordx4 v[35:38], v[67:68], off
	global_load_dwordx4 v[63:66], v[69:70], off
	v_lshlrev_b64 v[67:68], 4, v[23:24]
	v_mov_b32_e32 v34, v24
	v_add_co_u32_e32 v75, vcc, s8, v67
	v_lshlrev_b64 v[32:33], 4, v[33:34]
	v_addc_co_u32_e32 v76, vcc, v20, v68, vcc
	v_add_co_u32_e32 v32, vcc, s8, v32
	v_addc_co_u32_e32 v33, vcc, v20, v33, vcc
	global_load_dwordx4 v[67:70], v[75:76], off
	global_load_dwordx4 v[71:74], v[32:33], off
	v_mov_b32_e32 v32, v24
	v_lshlrev_b64 v[30:31], 4, v[31:32]
	v_add_co_u32_e32 v33, vcc, s8, v30
	v_mov_b32_e32 v30, v24
	v_lshlrev_b64 v[28:29], 4, v[29:30]
	v_addc_co_u32_e32 v34, vcc, v20, v31, vcc
	v_add_co_u32_e32 v79, vcc, s8, v28
	v_mov_b32_e32 v28, v24
	v_lshlrev_b64 v[26:27], 4, v[27:28]
	v_addc_co_u32_e32 v80, vcc, v20, v29, vcc
	v_add_co_u32_e32 v26, vcc, s8, v26
	v_addc_co_u32_e32 v27, vcc, v20, v27, vcc
	global_load_dwordx4 v[29:32], v[33:34], off
	global_load_dwordx4 v[75:78], v[79:80], off
	s_nop 0
	global_load_dwordx4 v[79:82], v[26:27], off
	v_mov_b32_e32 v26, v24
	v_lshlrev_b64 v[26:27], 4, v[25:26]
	v_add_co_u32_e32 v26, vcc, s8, v26
	v_addc_co_u32_e32 v27, vcc, v20, v27, vcc
	global_load_dwordx4 v[83:86], v[26:27], off
	ds_read_b128 v[87:90], v18 offset:32
	ds_read_b128 v[91:94], v18 offset:48
	;; [unrolled: 1-line block ×7, first 2 shown]
	s_waitcnt vmcnt(6) lgkmcnt(6)
	v_fma_f64 v[87:88], v[1:2], v[63:64], v[87:88]
	v_fma_f64 v[63:64], v[3:4], v[63:64], v[89:90]
	s_waitcnt vmcnt(5) lgkmcnt(5)
	v_fma_f64 v[26:27], v[1:2], v[67:68], v[91:92]
	v_fma_f64 v[33:34], v[3:4], v[67:68], v[93:94]
	;; [unrolled: 1-line block ×4, first 2 shown]
	s_waitcnt vmcnt(4) lgkmcnt(4)
	v_fma_f64 v[89:90], v[1:2], v[71:72], v[95:96]
	v_fma_f64 v[71:72], v[3:4], v[71:72], v[97:98]
	v_fma_f64 v[9:10], -v[3:4], v[69:70], v[26:27]
	v_fma_f64 v[11:12], v[1:2], v[69:70], v[33:34]
	v_fma_f64 v[26:27], -v[3:4], v[37:38], v[67:68]
	v_fma_f64 v[33:34], -v[3:4], v[65:66], v[87:88]
	s_waitcnt vmcnt(3) lgkmcnt(3)
	v_fma_f64 v[91:92], v[1:2], v[29:30], v[99:100]
	v_fma_f64 v[93:94], v[3:4], v[29:30], v[101:102]
	s_waitcnt vmcnt(2) lgkmcnt(2)
	v_fma_f64 v[95:96], v[1:2], v[75:76], v[103:104]
	v_fma_f64 v[75:76], v[3:4], v[75:76], v[105:106]
	;; [unrolled: 3-line block ×3, first 2 shown]
	v_fma_f64 v[28:29], v[1:2], v[37:38], v[35:36]
	v_fma_f64 v[35:36], v[1:2], v[65:66], v[63:64]
	v_fma_f64 v[63:64], -v[3:4], v[73:74], v[89:90]
	v_fma_f64 v[65:66], v[1:2], v[73:74], v[71:72]
	v_fma_f64 v[67:68], -v[3:4], v[31:32], v[91:92]
	s_waitcnt vmcnt(0) lgkmcnt(0)
	v_fma_f64 v[99:100], v[1:2], v[83:84], v[111:112]
	v_fma_f64 v[37:38], v[3:4], v[83:84], v[113:114]
	;; [unrolled: 1-line block ×3, first 2 shown]
	v_fma_f64 v[71:72], -v[3:4], v[77:78], v[95:96]
	v_fma_f64 v[73:74], v[1:2], v[77:78], v[75:76]
	v_fma_f64 v[75:76], -v[3:4], v[81:82], v[97:98]
	v_fma_f64 v[77:78], v[1:2], v[81:82], v[79:80]
	;; [unrolled: 2-line block ×3, first 2 shown]
	ds_write_b128 v18, v[26:29] offset:16
	ds_write_b128 v18, v[33:36] offset:32
	;; [unrolled: 1-line block ×8, first 2 shown]
.LBB27_32:                              ;   in Loop: Header=BB27_25 Depth=2
	s_or_b64 exec, exec, s[30:31]
	s_mov_b64 s[30:31], -1
	s_and_saveexec_b64 s[34:35], s[6:7]
	s_cbranch_execz .LBB27_24
; %bb.33:                               ;   in Loop: Header=BB27_25 Depth=2
	v_add_u32_e32 v19, 64, v19
	v_cmp_ge_i32_e32 vcc, v19, v42
	v_add_u32_e32 v25, 0x240, v25
	s_orn2_b64 s[30:31], vcc, exec
	s_branch .LBB27_24
.LBB27_34:                              ;   in Loop: Header=BB27_9 Depth=1
	s_or_b64 exec, exec, s[28:29]
.LBB27_35:                              ;   in Loop: Header=BB27_9 Depth=1
	s_or_b64 exec, exec, s[16:17]
	s_waitcnt lgkmcnt(0)
	ds_read_u8 v9, v59
	s_waitcnt lgkmcnt(0)
	v_and_b32_e32 v10, 1, v9
	v_cmp_eq_u32_e64 s[6:7], 1, v10
	v_cmp_ne_u16_e32 vcc, 0, v9
	s_and_saveexec_b64 s[16:17], s[6:7]
	s_cbranch_execz .LBB27_8
; %bb.36:                               ;   in Loop: Header=BB27_9 Depth=1
	v_and_b32_e32 v10, vcc_lo, v21
	v_and_b32_e32 v9, vcc_hi, v22
	v_bcnt_u32_b32 v10, v10, 0
	v_bcnt_u32_b32 v9, v9, v10
	v_add3_u32 v9, v43, v9, -1
	v_ashrrev_i32_e32 v10, 31, v9
	v_lshlrev_b64 v[10:11], 2, v[9:10]
	v_mov_b32_e32 v18, s25
	v_add_co_u32_e64 v10, s[6:7], s24, v10
	v_add_u32_e32 v12, v44, v62
	v_addc_co_u32_e64 v11, s[6:7], v18, v11, s[6:7]
	global_store_dword v[10:11], v12, off
	v_lshl_add_u32 v23, v9, 3, v9
	ds_read2_b64 v[9:12], v0 offset1:1
	v_lshlrev_b64 v[25:26], 4, v[23:24]
	v_mov_b32_e32 v18, s27
	v_add_co_u32_e64 v29, s[6:7], s26, v25
	v_addc_co_u32_e64 v30, s[6:7], v18, v26, s[6:7]
	ds_read2_b64 v[25:28], v46 offset1:1
	s_waitcnt lgkmcnt(1)
	global_store_dwordx4 v[29:30], v[9:12], off
	s_nop 0
	v_add_u32_e32 v9, 1, v23
	v_mov_b32_e32 v10, v24
	v_lshlrev_b64 v[9:10], 4, v[9:10]
	v_mov_b32_e32 v11, s27
	v_add_co_u32_e64 v37, s[6:7], s26, v9
	v_addc_co_u32_e64 v38, s[6:7], v11, v10, s[6:7]
	v_add_u32_e32 v9, 2, v23
	v_mov_b32_e32 v10, v24
	v_lshlrev_b64 v[9:10], 4, v[9:10]
	v_add_co_u32_e64 v62, s[6:7], s26, v9
	v_addc_co_u32_e64 v63, s[6:7], v11, v10, s[6:7]
	v_add_u32_e32 v9, 3, v23
	v_mov_b32_e32 v10, v24
	v_lshlrev_b64 v[9:10], 4, v[9:10]
	;; [unrolled: 5-line block ×6, first 2 shown]
	v_add_u32_e32 v23, 8, v23
	v_add_co_u32_e64 v72, s[6:7], s26, v9
	v_addc_co_u32_e64 v73, s[6:7], v11, v10, s[6:7]
	ds_read2_b64 v[9:12], v53 offset1:1
	ds_read2_b64 v[29:32], v54 offset1:1
	;; [unrolled: 1-line block ×3, first 2 shown]
	s_waitcnt lgkmcnt(2)
	global_store_dwordx4 v[37:38], v[9:12], off
	s_waitcnt lgkmcnt(1)
	global_store_dwordx4 v[62:63], v[29:32], off
	;; [unrolled: 2-line block ×3, first 2 shown]
	ds_read2_b64 v[9:12], v56 offset1:1
	ds_read2_b64 v[29:32], v57 offset1:1
	;; [unrolled: 1-line block ×4, first 2 shown]
	v_lshlrev_b64 v[74:75], 4, v[23:24]
	v_add_co_u32_e64 v74, s[6:7], s26, v74
	v_addc_co_u32_e64 v75, s[6:7], v18, v75, s[6:7]
	global_store_dwordx4 v[66:67], v[25:28], off
	s_waitcnt lgkmcnt(3)
	global_store_dwordx4 v[68:69], v[9:12], off
	s_waitcnt lgkmcnt(2)
	;; [unrolled: 2-line block ×4, first 2 shown]
	global_store_dwordx4 v[74:75], v[62:65], off
	s_branch .LBB27_8
.LBB27_37:
	s_endpgm
	.section	.rodata,"a",@progbits
	.p2align	6, 0x0
	.amdhsa_kernel _ZN9rocsparseL39bsrgeam_wf_per_row_multipass_2_3_kernelILj256ELj3ELj64E21rocsparse_complex_numIdEEEv20rocsparse_direction_iiiNS_24const_host_device_scalarIT2_EEPKiS8_PKS5_S6_S8_S8_SA_S8_PiPS5_21rocsparse_index_base_SD_SD_b
		.amdhsa_group_segment_fixed_size 37120
		.amdhsa_private_segment_fixed_size 16
		.amdhsa_kernarg_size 136
		.amdhsa_user_sgpr_count 8
		.amdhsa_user_sgpr_private_segment_buffer 1
		.amdhsa_user_sgpr_dispatch_ptr 0
		.amdhsa_user_sgpr_queue_ptr 0
		.amdhsa_user_sgpr_kernarg_segment_ptr 1
		.amdhsa_user_sgpr_dispatch_id 0
		.amdhsa_user_sgpr_flat_scratch_init 1
		.amdhsa_user_sgpr_private_segment_size 0
		.amdhsa_uses_dynamic_stack 0
		.amdhsa_system_sgpr_private_segment_wavefront_offset 1
		.amdhsa_system_sgpr_workgroup_id_x 1
		.amdhsa_system_sgpr_workgroup_id_y 0
		.amdhsa_system_sgpr_workgroup_id_z 0
		.amdhsa_system_sgpr_workgroup_info 0
		.amdhsa_system_vgpr_workitem_id 0
		.amdhsa_next_free_vgpr 129
		.amdhsa_next_free_sgpr 96
		.amdhsa_reserve_vcc 1
		.amdhsa_reserve_flat_scratch 1
		.amdhsa_float_round_mode_32 0
		.amdhsa_float_round_mode_16_64 0
		.amdhsa_float_denorm_mode_32 3
		.amdhsa_float_denorm_mode_16_64 3
		.amdhsa_dx10_clamp 1
		.amdhsa_ieee_mode 1
		.amdhsa_fp16_overflow 0
		.amdhsa_exception_fp_ieee_invalid_op 0
		.amdhsa_exception_fp_denorm_src 0
		.amdhsa_exception_fp_ieee_div_zero 0
		.amdhsa_exception_fp_ieee_overflow 0
		.amdhsa_exception_fp_ieee_underflow 0
		.amdhsa_exception_fp_ieee_inexact 0
		.amdhsa_exception_int_div_zero 0
	.end_amdhsa_kernel
	.section	.text._ZN9rocsparseL39bsrgeam_wf_per_row_multipass_2_3_kernelILj256ELj3ELj64E21rocsparse_complex_numIdEEEv20rocsparse_direction_iiiNS_24const_host_device_scalarIT2_EEPKiS8_PKS5_S6_S8_S8_SA_S8_PiPS5_21rocsparse_index_base_SD_SD_b,"axG",@progbits,_ZN9rocsparseL39bsrgeam_wf_per_row_multipass_2_3_kernelILj256ELj3ELj64E21rocsparse_complex_numIdEEEv20rocsparse_direction_iiiNS_24const_host_device_scalarIT2_EEPKiS8_PKS5_S6_S8_S8_SA_S8_PiPS5_21rocsparse_index_base_SD_SD_b,comdat
.Lfunc_end27:
	.size	_ZN9rocsparseL39bsrgeam_wf_per_row_multipass_2_3_kernelILj256ELj3ELj64E21rocsparse_complex_numIdEEEv20rocsparse_direction_iiiNS_24const_host_device_scalarIT2_EEPKiS8_PKS5_S6_S8_S8_SA_S8_PiPS5_21rocsparse_index_base_SD_SD_b, .Lfunc_end27-_ZN9rocsparseL39bsrgeam_wf_per_row_multipass_2_3_kernelILj256ELj3ELj64E21rocsparse_complex_numIdEEEv20rocsparse_direction_iiiNS_24const_host_device_scalarIT2_EEPKiS8_PKS5_S6_S8_S8_SA_S8_PiPS5_21rocsparse_index_base_SD_SD_b
                                        ; -- End function
	.set _ZN9rocsparseL39bsrgeam_wf_per_row_multipass_2_3_kernelILj256ELj3ELj64E21rocsparse_complex_numIdEEEv20rocsparse_direction_iiiNS_24const_host_device_scalarIT2_EEPKiS8_PKS5_S6_S8_S8_SA_S8_PiPS5_21rocsparse_index_base_SD_SD_b.num_vgpr, 127
	.set _ZN9rocsparseL39bsrgeam_wf_per_row_multipass_2_3_kernelILj256ELj3ELj64E21rocsparse_complex_numIdEEEv20rocsparse_direction_iiiNS_24const_host_device_scalarIT2_EEPKiS8_PKS5_S6_S8_S8_SA_S8_PiPS5_21rocsparse_index_base_SD_SD_b.num_agpr, 0
	.set _ZN9rocsparseL39bsrgeam_wf_per_row_multipass_2_3_kernelILj256ELj3ELj64E21rocsparse_complex_numIdEEEv20rocsparse_direction_iiiNS_24const_host_device_scalarIT2_EEPKiS8_PKS5_S6_S8_S8_SA_S8_PiPS5_21rocsparse_index_base_SD_SD_b.numbered_sgpr, 36
	.set _ZN9rocsparseL39bsrgeam_wf_per_row_multipass_2_3_kernelILj256ELj3ELj64E21rocsparse_complex_numIdEEEv20rocsparse_direction_iiiNS_24const_host_device_scalarIT2_EEPKiS8_PKS5_S6_S8_S8_SA_S8_PiPS5_21rocsparse_index_base_SD_SD_b.num_named_barrier, 0
	.set _ZN9rocsparseL39bsrgeam_wf_per_row_multipass_2_3_kernelILj256ELj3ELj64E21rocsparse_complex_numIdEEEv20rocsparse_direction_iiiNS_24const_host_device_scalarIT2_EEPKiS8_PKS5_S6_S8_S8_SA_S8_PiPS5_21rocsparse_index_base_SD_SD_b.private_seg_size, 16
	.set _ZN9rocsparseL39bsrgeam_wf_per_row_multipass_2_3_kernelILj256ELj3ELj64E21rocsparse_complex_numIdEEEv20rocsparse_direction_iiiNS_24const_host_device_scalarIT2_EEPKiS8_PKS5_S6_S8_S8_SA_S8_PiPS5_21rocsparse_index_base_SD_SD_b.uses_vcc, 1
	.set _ZN9rocsparseL39bsrgeam_wf_per_row_multipass_2_3_kernelILj256ELj3ELj64E21rocsparse_complex_numIdEEEv20rocsparse_direction_iiiNS_24const_host_device_scalarIT2_EEPKiS8_PKS5_S6_S8_S8_SA_S8_PiPS5_21rocsparse_index_base_SD_SD_b.uses_flat_scratch, 1
	.set _ZN9rocsparseL39bsrgeam_wf_per_row_multipass_2_3_kernelILj256ELj3ELj64E21rocsparse_complex_numIdEEEv20rocsparse_direction_iiiNS_24const_host_device_scalarIT2_EEPKiS8_PKS5_S6_S8_S8_SA_S8_PiPS5_21rocsparse_index_base_SD_SD_b.has_dyn_sized_stack, 0
	.set _ZN9rocsparseL39bsrgeam_wf_per_row_multipass_2_3_kernelILj256ELj3ELj64E21rocsparse_complex_numIdEEEv20rocsparse_direction_iiiNS_24const_host_device_scalarIT2_EEPKiS8_PKS5_S6_S8_S8_SA_S8_PiPS5_21rocsparse_index_base_SD_SD_b.has_recursion, 0
	.set _ZN9rocsparseL39bsrgeam_wf_per_row_multipass_2_3_kernelILj256ELj3ELj64E21rocsparse_complex_numIdEEEv20rocsparse_direction_iiiNS_24const_host_device_scalarIT2_EEPKiS8_PKS5_S6_S8_S8_SA_S8_PiPS5_21rocsparse_index_base_SD_SD_b.has_indirect_call, 0
	.section	.AMDGPU.csdata,"",@progbits
; Kernel info:
; codeLenInByte = 4700
; TotalNumSgprs: 42
; NumVgprs: 127
; ScratchSize: 16
; MemoryBound: 0
; FloatMode: 240
; IeeeMode: 1
; LDSByteSize: 37120 bytes/workgroup (compile time only)
; SGPRBlocks: 12
; VGPRBlocks: 32
; NumSGPRsForWavesPerEU: 102
; NumVGPRsForWavesPerEU: 129
; Occupancy: 1
; WaveLimiterHint : 1
; COMPUTE_PGM_RSRC2:SCRATCH_EN: 1
; COMPUTE_PGM_RSRC2:USER_SGPR: 8
; COMPUTE_PGM_RSRC2:TRAP_HANDLER: 0
; COMPUTE_PGM_RSRC2:TGID_X_EN: 1
; COMPUTE_PGM_RSRC2:TGID_Y_EN: 0
; COMPUTE_PGM_RSRC2:TGID_Z_EN: 0
; COMPUTE_PGM_RSRC2:TIDIG_COMP_CNT: 0
	.section	.text._ZN9rocsparseL35bsrgeam_wf_per_row_multipass_kernelILj64ELj4E21rocsparse_complex_numIdEEEv20rocsparse_direction_iiiNS_24const_host_device_scalarIT1_EEPKiS8_PKS5_S6_S8_S8_SA_S8_PiPS5_21rocsparse_index_base_SD_SD_b,"axG",@progbits,_ZN9rocsparseL35bsrgeam_wf_per_row_multipass_kernelILj64ELj4E21rocsparse_complex_numIdEEEv20rocsparse_direction_iiiNS_24const_host_device_scalarIT1_EEPKiS8_PKS5_S6_S8_S8_SA_S8_PiPS5_21rocsparse_index_base_SD_SD_b,comdat
	.globl	_ZN9rocsparseL35bsrgeam_wf_per_row_multipass_kernelILj64ELj4E21rocsparse_complex_numIdEEEv20rocsparse_direction_iiiNS_24const_host_device_scalarIT1_EEPKiS8_PKS5_S6_S8_S8_SA_S8_PiPS5_21rocsparse_index_base_SD_SD_b ; -- Begin function _ZN9rocsparseL35bsrgeam_wf_per_row_multipass_kernelILj64ELj4E21rocsparse_complex_numIdEEEv20rocsparse_direction_iiiNS_24const_host_device_scalarIT1_EEPKiS8_PKS5_S6_S8_S8_SA_S8_PiPS5_21rocsparse_index_base_SD_SD_b
	.p2align	8
	.type	_ZN9rocsparseL35bsrgeam_wf_per_row_multipass_kernelILj64ELj4E21rocsparse_complex_numIdEEEv20rocsparse_direction_iiiNS_24const_host_device_scalarIT1_EEPKiS8_PKS5_S6_S8_S8_SA_S8_PiPS5_21rocsparse_index_base_SD_SD_b,@function
_ZN9rocsparseL35bsrgeam_wf_per_row_multipass_kernelILj64ELj4E21rocsparse_complex_numIdEEEv20rocsparse_direction_iiiNS_24const_host_device_scalarIT1_EEPKiS8_PKS5_S6_S8_S8_SA_S8_PiPS5_21rocsparse_index_base_SD_SD_b: ; @_ZN9rocsparseL35bsrgeam_wf_per_row_multipass_kernelILj64ELj4E21rocsparse_complex_numIdEEEv20rocsparse_direction_iiiNS_24const_host_device_scalarIT1_EEPKiS8_PKS5_S6_S8_S8_SA_S8_PiPS5_21rocsparse_index_base_SD_SD_b
; %bb.0:
	s_add_u32 flat_scratch_lo, s6, s9
	s_addc_u32 flat_scratch_hi, s7, 0
	s_load_dwordx4 s[12:15], s[4:5], 0x78
	s_load_dwordx4 s[16:19], s[4:5], 0x10
	s_load_dwordx2 s[10:11], s[4:5], 0x20
	s_add_u32 s0, s0, s9
	s_addc_u32 s1, s1, 0
	s_waitcnt lgkmcnt(0)
	s_bitcmp1_b32 s15, 0
	s_cselect_b64 s[6:7], -1, 0
	s_mov_b64 s[20:21], src_private_base
	v_mov_b32_e32 v1, s17
	s_and_b64 vcc, s[6:7], exec
	buffer_store_dword v1, off, s[0:3], 0 offset:4
	v_mov_b32_e32 v1, s16
	s_cselect_b32 s9, s21, s17
	s_cselect_b32 s15, 0, s16
	buffer_store_dword v1, off, s[0:3], 0
	v_mov_b32_e32 v1, s15
	v_mov_b32_e32 v2, s9
	flat_load_dwordx2 v[9:10], v[1:2]
	v_mov_b32_e32 v11, s18
	v_mov_b32_e32 v12, s19
	s_cbranch_vccnz .LBB28_2
; %bb.1:
	v_mov_b32_e32 v1, s16
	v_mov_b32_e32 v2, s17
	flat_load_dwordx2 v[11:12], v[1:2] offset:8
.LBB28_2:
	s_load_dwordx2 s[16:17], s[4:5], 0x38
	s_add_u32 s9, s4, 56
	s_addc_u32 s15, s5, 0
	s_and_b64 s[6:7], s[6:7], exec
	v_lshrrev_b32_e32 v7, 4, v0
	s_waitcnt lgkmcnt(0)
	s_cselect_b32 s6, s15, s17
	s_cselect_b32 s7, s9, s16
	v_mov_b32_e32 v1, s7
	v_mov_b32_e32 v2, s6
	flat_load_dwordx4 v[1:4], v[1:2]
	s_load_dwordx4 s[16:19], s[4:5], 0x0
	v_lshl_or_b32 v5, s8, 2, v7
	v_mov_b32_e32 v24, 0
	v_ashrrev_i32_e32 v6, 31, v5
	v_mov_b32_e32 v13, 0
	s_waitcnt lgkmcnt(0)
	v_cmp_le_i32_e32 vcc, s17, v5
	v_cmp_gt_i32_e64 s[6:7], s17, v5
	s_and_saveexec_b64 s[20:21], s[6:7]
	s_cbranch_execz .LBB28_4
; %bb.3:
	v_lshlrev_b64 v[13:14], 2, v[5:6]
	v_mov_b32_e32 v8, s11
	v_add_co_u32_e64 v13, s[8:9], s10, v13
	v_addc_co_u32_e64 v14, s[8:9], v8, v14, s[8:9]
	global_load_dword v8, v[13:14], off
	s_waitcnt vmcnt(0)
	v_subrev_u32_e32 v13, s12, v8
.LBB28_4:
	s_or_b64 exec, exec, s[20:21]
	s_load_dwordx2 s[20:21], s[4:5], 0x48
	s_and_saveexec_b64 s[22:23], s[6:7]
	s_cbranch_execz .LBB28_6
; %bb.5:
	v_lshlrev_b64 v[14:15], 2, v[5:6]
	v_mov_b32_e32 v8, s11
	v_add_co_u32_e64 v14, s[8:9], s10, v14
	v_addc_co_u32_e64 v15, s[8:9], v8, v15, s[8:9]
	global_load_dword v8, v[14:15], off offset:4
	s_waitcnt vmcnt(0)
	v_subrev_u32_e32 v24, s12, v8
.LBB28_6:
	s_or_b64 exec, exec, s[22:23]
	v_mov_b32_e32 v25, 0
	v_mov_b32_e32 v15, 0
	s_and_saveexec_b64 s[10:11], s[6:7]
	s_cbranch_execz .LBB28_8
; %bb.7:
	v_lshlrev_b64 v[14:15], 2, v[5:6]
	s_waitcnt lgkmcnt(0)
	v_mov_b32_e32 v8, s21
	v_add_co_u32_e64 v14, s[8:9], s20, v14
	v_addc_co_u32_e64 v15, s[8:9], v8, v15, s[8:9]
	global_load_dword v8, v[14:15], off
	s_waitcnt vmcnt(0)
	v_subrev_u32_e32 v15, s13, v8
.LBB28_8:
	s_or_b64 exec, exec, s[10:11]
	s_and_saveexec_b64 s[10:11], s[6:7]
	s_cbranch_execz .LBB28_10
; %bb.9:
	v_lshlrev_b64 v[16:17], 2, v[5:6]
	s_waitcnt lgkmcnt(0)
	v_mov_b32_e32 v8, s21
	v_add_co_u32_e64 v16, s[8:9], s20, v16
	v_addc_co_u32_e64 v17, s[8:9], v8, v17, s[8:9]
	global_load_dword v8, v[16:17], off offset:4
	s_waitcnt vmcnt(0)
	v_subrev_u32_e32 v25, s13, v8
.LBB28_10:
	s_or_b64 exec, exec, s[10:11]
	s_load_dwordx2 s[24:25], s[4:5], 0x28
	v_mov_b32_e32 v17, 0
	s_and_saveexec_b64 s[8:9], s[6:7]
	s_cbranch_execz .LBB28_12
; %bb.11:
	s_load_dwordx2 s[6:7], s[4:5], 0x60
	v_lshlrev_b64 v[5:6], 2, v[5:6]
	s_waitcnt lgkmcnt(0)
	v_mov_b32_e32 v8, s7
	v_add_co_u32_e64 v5, s[6:7], s6, v5
	v_addc_co_u32_e64 v6, s[6:7], v8, v6, s[6:7]
	global_load_dword v5, v[5:6], off
	s_waitcnt vmcnt(0)
	v_subrev_u32_e32 v17, s14, v5
.LBB28_12:
	s_or_b64 exec, exec, s[8:9]
	s_load_dwordx2 s[26:27], s[4:5], 0x50
	v_cmp_lt_i32_e64 s[6:7], v13, v24
	v_mov_b32_e32 v6, s18
	s_and_saveexec_b64 s[8:9], s[6:7]
	s_cbranch_execz .LBB28_14
; %bb.13:
	v_ashrrev_i32_e32 v14, 31, v13
	v_lshlrev_b64 v[5:6], 2, v[13:14]
	s_waitcnt lgkmcnt(0)
	v_mov_b32_e32 v8, s25
	v_add_co_u32_e64 v5, s[6:7], s24, v5
	v_addc_co_u32_e64 v6, s[6:7], v8, v6, s[6:7]
	global_load_dword v5, v[5:6], off
	s_waitcnt vmcnt(0)
	v_subrev_u32_e32 v6, s12, v5
.LBB28_14:
	s_or_b64 exec, exec, s[8:9]
	v_cmp_lt_i32_e64 s[6:7], v15, v25
	v_mov_b32_e32 v8, s18
	s_and_saveexec_b64 s[8:9], s[6:7]
	s_cbranch_execz .LBB28_16
; %bb.15:
	v_ashrrev_i32_e32 v16, 31, v15
	v_lshlrev_b64 v[18:19], 2, v[15:16]
	s_waitcnt lgkmcnt(0)
	v_mov_b32_e32 v5, s27
	v_add_co_u32_e64 v18, s[6:7], s26, v18
	v_addc_co_u32_e64 v19, s[6:7], v5, v19, s[6:7]
	global_load_dword v5, v[18:19], off
	s_waitcnt vmcnt(0)
	v_subrev_u32_e32 v8, s13, v5
.LBB28_16:
	s_or_b64 exec, exec, s[8:9]
	v_cndmask_b32_e64 v5, 0, 1, vcc
	v_lshlrev_b32_e32 v14, 2, v7
	ds_write_b32 v14, v5 offset:1024
	v_mov_b32_e32 v5, 0
	s_waitcnt lgkmcnt(0)
	; wave barrier
	ds_read_b32 v16, v5 offset:1024
	s_waitcnt lgkmcnt(0)
	v_cmp_lt_u32_e32 vcc, 3, v16
	s_cbranch_vccnz .LBB28_56
; %bb.17:
	v_and_b32_e32 v19, 3, v0
	v_bfe_u32 v20, v0, 2, 2
	v_min_i32_e32 v18, v8, v6
	v_mov_b32_e32 v6, 0x410
	s_load_dwordx4 s[20:23], s[4:5], 0x68
	s_load_dwordx2 s[28:29], s[4:5], 0x58
	s_load_dwordx2 s[30:31], s[4:5], 0x30
	v_lshl_or_b32 v27, v7, 2, v6
	v_max_i32_e32 v6, v20, v19
	v_cmp_gt_i32_e64 s[4:5], s19, v6
	v_and_b32_e32 v6, 48, v0
	s_cmp_lg_u32 s16, 0
	v_lshlrev_b32_e32 v6, 4, v6
	v_lshlrev_b32_e32 v7, 6, v20
	;; [unrolled: 1-line block ×3, first 2 shown]
	s_cselect_b64 s[34:35], -1, 0
	s_cmp_eq_u32 s16, 0
	v_or3_b32 v29, v6, v7, v8
	v_lshlrev_b32_e32 v7, 6, v19
	v_lshlrev_b32_e32 v8, 4, v20
	v_or3_b32 v30, v6, v7, v8
	v_mov_b32_e32 v6, 0x400
	s_cselect_b64 vcc, -1, 0
	v_or_b32_e32 v26, 0x400, v14
	v_lshlrev_b32_e32 v28, 4, v0
	v_cmp_gt_u32_e64 s[6:7], 2, v0
	v_lshl_or_b32 v31, v0, 2, v6
	v_cmp_eq_u32_e64 s[8:9], 0, v0
	v_cndmask_b32_e32 v0, v20, v19, vcc
	v_cndmask_b32_e32 v21, v19, v20, vcc
	;; [unrolled: 1-line block ×3, first 2 shown]
	s_mul_i32 s15, s19, s19
	v_mov_b32_e32 v33, 1
	s_branch .LBB28_19
.LBB28_18:                              ;   in Loop: Header=BB28_19 Depth=1
	s_or_b64 exec, exec, s[10:11]
	s_waitcnt lgkmcnt(0)
	; wave barrier
	ds_read_b32 v6, v5 offset:1024
	v_add_u32_e32 v17, 1, v17
	v_mov_b32_e32 v18, v14
	s_waitcnt lgkmcnt(0)
	v_cmp_gt_u32_e32 vcc, 4, v6
	s_cbranch_vccz .LBB28_56
.LBB28_19:                              ; =>This Loop Header: Depth=1
                                        ;     Child Loop BB28_22 Depth 2
                                        ;     Child Loop BB28_37 Depth 2
	v_mov_b32_e32 v6, v5
	v_mov_b32_e32 v7, v5
	;; [unrolled: 1-line block ×3, first 2 shown]
	v_cmp_lt_i32_e32 vcc, v13, v24
	v_mov_b32_e32 v14, s18
	ds_write_b32 v27, v5
	ds_write_b128 v28, v[5:8]
	s_waitcnt lgkmcnt(0)
	; wave barrier
	s_and_saveexec_b64 s[16:17], vcc
	s_cbranch_execz .LBB28_34
; %bb.20:                               ;   in Loop: Header=BB28_19 Depth=1
	v_mul_lo_u32 v6, s19, v13
	v_ashrrev_i32_e32 v14, 31, v13
	v_lshlrev_b64 v[22:23], 2, v[13:14]
	s_mov_b64 s[36:37], 0
	v_add_u32_e32 v7, v19, v6
	v_add_u32_e32 v8, v20, v6
	v_mad_u64_u32 v[6:7], s[10:11], s19, v7, v[20:21]
	v_mad_u64_u32 v[7:8], s[10:11], s19, v8, v[19:20]
	v_mov_b32_e32 v8, s25
	v_add_co_u32_e32 v22, vcc, s24, v22
	v_addc_co_u32_e32 v23, vcc, v8, v23, vcc
	v_mov_b32_e32 v8, 0
	v_mov_b32_e32 v14, s18
	s_branch .LBB28_22
.LBB28_21:                              ;   in Loop: Header=BB28_22 Depth=2
	s_or_b64 exec, exec, s[40:41]
	s_and_b64 s[10:11], exec, s[38:39]
	v_mov_b32_e32 v34, v13
	s_or_b64 s[36:37], s[10:11], s[36:37]
	v_mov_b32_e32 v13, v16
	s_andn2_b64 exec, exec, s[36:37]
	s_cbranch_execz .LBB28_33
.LBB28_22:                              ;   Parent Loop BB28_19 Depth=1
                                        ; =>  This Inner Loop Header: Depth=2
	global_load_dword v16, v[22:23], off
	s_waitcnt vmcnt(0)
	v_subrev_u32_e32 v16, s12, v16
	v_cmp_le_i32_e64 s[10:11], v16, v18
	s_and_saveexec_b64 s[38:39], s[10:11]
	s_xor_b64 s[38:39], exec, s[38:39]
	s_cbranch_execz .LBB28_29
; %bb.23:                               ;   in Loop: Header=BB28_22 Depth=2
	ds_write_b32 v27, v33
	s_and_saveexec_b64 s[40:41], s[4:5]
	s_cbranch_execz .LBB28_28
; %bb.24:                               ;   in Loop: Header=BB28_22 Depth=2
	s_mov_b64 s[42:43], -1
	s_and_b64 vcc, exec, s[34:35]
	s_cbranch_vccz .LBB28_26
; %bb.25:                               ;   in Loop: Header=BB28_22 Depth=2
	v_add_u32_e32 v34, v7, v8
	v_ashrrev_i32_e32 v35, 31, v34
	v_lshlrev_b64 v[34:35], 4, v[34:35]
	v_mov_b32_e32 v16, s31
	v_add_co_u32_e32 v34, vcc, s30, v34
	v_addc_co_u32_e32 v35, vcc, v16, v35, vcc
	global_load_dwordx4 v[34:37], v[34:35], off
	s_mov_b64 s[42:43], 0
	s_waitcnt vmcnt(0)
	v_mul_f64 v[38:39], v[36:37], -v[11:12]
	v_mul_f64 v[40:41], v[9:10], v[36:37]
	v_fma_f64 v[36:37], v[9:10], v[34:35], v[38:39]
	v_fma_f64 v[38:39], v[11:12], v[34:35], v[40:41]
	ds_write_b128 v29, v[36:39]
.LBB28_26:                              ;   in Loop: Header=BB28_22 Depth=2
	s_andn2_b64 vcc, exec, s[42:43]
	s_cbranch_vccnz .LBB28_28
; %bb.27:                               ;   in Loop: Header=BB28_22 Depth=2
	v_add_u32_e32 v34, v6, v8
	v_ashrrev_i32_e32 v35, 31, v34
	v_lshlrev_b64 v[34:35], 4, v[34:35]
	v_mov_b32_e32 v16, s31
	v_add_co_u32_e32 v34, vcc, s30, v34
	v_addc_co_u32_e32 v35, vcc, v16, v35, vcc
	global_load_dwordx4 v[34:37], v[34:35], off
	s_waitcnt vmcnt(0)
	v_mul_f64 v[38:39], v[36:37], -v[11:12]
	v_mul_f64 v[40:41], v[9:10], v[36:37]
	v_fma_f64 v[36:37], v[9:10], v[34:35], v[38:39]
	v_fma_f64 v[38:39], v[11:12], v[34:35], v[40:41]
	ds_write_b128 v30, v[36:39]
.LBB28_28:                              ;   in Loop: Header=BB28_22 Depth=2
	s_or_b64 exec, exec, s[40:41]
                                        ; implicit-def: $vgpr16
	s_andn2_saveexec_b64 s[38:39], s[38:39]
	s_branch .LBB28_30
.LBB28_29:                              ;   in Loop: Header=BB28_22 Depth=2
	s_andn2_saveexec_b64 s[38:39], s[38:39]
.LBB28_30:                              ;   in Loop: Header=BB28_22 Depth=2
	v_min_i32_e32 v14, v16, v14
; %bb.31:                               ;   in Loop: Header=BB28_22 Depth=2
	s_or_b64 exec, exec, s[38:39]
	s_mov_b64 s[38:39], -1
                                        ; implicit-def: $vgpr16
	s_and_saveexec_b64 s[40:41], s[10:11]
	s_cbranch_execz .LBB28_21
; %bb.32:                               ;   in Loop: Header=BB28_22 Depth=2
	v_add_co_u32_e32 v22, vcc, 4, v22
	v_add_u32_e32 v16, 1, v13
	v_addc_co_u32_e32 v23, vcc, 0, v23, vcc
	v_cmp_ge_i32_e32 vcc, v16, v24
	v_add_u32_e32 v8, s15, v8
	s_orn2_b64 s[38:39], vcc, exec
	v_mov_b32_e32 v13, v24
	s_branch .LBB28_21
.LBB28_33:                              ;   in Loop: Header=BB28_19 Depth=1
	s_or_b64 exec, exec, s[36:37]
	v_mov_b32_e32 v13, v34
.LBB28_34:                              ;   in Loop: Header=BB28_19 Depth=1
	s_or_b64 exec, exec, s[16:17]
	v_cmp_lt_i32_e32 vcc, v15, v25
	s_waitcnt lgkmcnt(0)
	; wave barrier
	s_and_saveexec_b64 s[16:17], vcc
	s_cbranch_execz .LBB28_49
; %bb.35:                               ;   in Loop: Header=BB28_19 Depth=1
	v_mul_lo_u32 v6, s19, v15
	v_ashrrev_i32_e32 v16, 31, v15
	v_lshlrev_b64 v[22:23], 2, v[15:16]
	s_mov_b64 s[36:37], 0
	v_add_u32_e32 v7, v19, v6
	v_add_u32_e32 v8, v20, v6
	v_mad_u64_u32 v[6:7], s[10:11], s19, v7, v[20:21]
	v_mad_u64_u32 v[7:8], s[10:11], s19, v8, v[19:20]
	v_mov_b32_e32 v8, s27
	v_add_co_u32_e32 v22, vcc, s26, v22
	v_addc_co_u32_e32 v23, vcc, v8, v23, vcc
	v_mov_b32_e32 v8, 0
	s_branch .LBB28_37
.LBB28_36:                              ;   in Loop: Header=BB28_37 Depth=2
	s_or_b64 exec, exec, s[40:41]
	s_and_b64 s[10:11], exec, s[38:39]
	v_mov_b32_e32 v34, v15
	s_or_b64 s[36:37], s[10:11], s[36:37]
	v_mov_b32_e32 v15, v16
	s_andn2_b64 exec, exec, s[36:37]
	s_cbranch_execz .LBB28_48
.LBB28_37:                              ;   Parent Loop BB28_19 Depth=1
                                        ; =>  This Inner Loop Header: Depth=2
	global_load_dword v16, v[22:23], off
	s_waitcnt vmcnt(0)
	v_subrev_u32_e32 v16, s13, v16
	v_cmp_le_i32_e64 s[10:11], v16, v18
	s_and_saveexec_b64 s[38:39], s[10:11]
	s_xor_b64 s[38:39], exec, s[38:39]
	s_cbranch_execz .LBB28_44
; %bb.38:                               ;   in Loop: Header=BB28_37 Depth=2
	ds_write_b32 v27, v33
	s_and_saveexec_b64 s[40:41], s[4:5]
	s_cbranch_execz .LBB28_43
; %bb.39:                               ;   in Loop: Header=BB28_37 Depth=2
	s_mov_b64 s[42:43], -1
	s_and_b64 vcc, exec, s[34:35]
	s_cbranch_vccz .LBB28_41
; %bb.40:                               ;   in Loop: Header=BB28_37 Depth=2
	v_add_u32_e32 v34, v7, v8
	v_ashrrev_i32_e32 v35, 31, v34
	v_lshlrev_b64 v[34:35], 4, v[34:35]
	v_mov_b32_e32 v16, s29
	v_add_co_u32_e32 v34, vcc, s28, v34
	v_addc_co_u32_e32 v35, vcc, v16, v35, vcc
	global_load_dwordx4 v[34:37], v[34:35], off
	ds_read_b128 v[38:41], v29
	s_mov_b64 s[42:43], 0
	s_waitcnt vmcnt(0) lgkmcnt(0)
	v_fma_f64 v[38:39], v[1:2], v[34:35], v[38:39]
	v_fma_f64 v[40:41], v[3:4], v[34:35], v[40:41]
	v_fma_f64 v[34:35], -v[3:4], v[36:37], v[38:39]
	v_fma_f64 v[36:37], v[1:2], v[36:37], v[40:41]
	ds_write_b128 v29, v[34:37]
.LBB28_41:                              ;   in Loop: Header=BB28_37 Depth=2
	s_andn2_b64 vcc, exec, s[42:43]
	s_cbranch_vccnz .LBB28_43
; %bb.42:                               ;   in Loop: Header=BB28_37 Depth=2
	v_add_u32_e32 v34, v6, v8
	v_ashrrev_i32_e32 v35, 31, v34
	v_lshlrev_b64 v[34:35], 4, v[34:35]
	v_mov_b32_e32 v16, s29
	v_add_co_u32_e32 v34, vcc, s28, v34
	v_addc_co_u32_e32 v35, vcc, v16, v35, vcc
	global_load_dwordx4 v[34:37], v[34:35], off
	ds_read_b128 v[38:41], v30
	s_waitcnt vmcnt(0) lgkmcnt(0)
	v_fma_f64 v[38:39], v[1:2], v[34:35], v[38:39]
	v_fma_f64 v[40:41], v[3:4], v[34:35], v[40:41]
	v_fma_f64 v[34:35], -v[3:4], v[36:37], v[38:39]
	v_fma_f64 v[36:37], v[1:2], v[36:37], v[40:41]
	ds_write_b128 v30, v[34:37]
.LBB28_43:                              ;   in Loop: Header=BB28_37 Depth=2
	s_or_b64 exec, exec, s[40:41]
                                        ; implicit-def: $vgpr16
	s_andn2_saveexec_b64 s[38:39], s[38:39]
	s_branch .LBB28_45
.LBB28_44:                              ;   in Loop: Header=BB28_37 Depth=2
	s_andn2_saveexec_b64 s[38:39], s[38:39]
.LBB28_45:                              ;   in Loop: Header=BB28_37 Depth=2
	v_min_i32_e32 v14, v16, v14
; %bb.46:                               ;   in Loop: Header=BB28_37 Depth=2
	s_or_b64 exec, exec, s[38:39]
	s_mov_b64 s[38:39], -1
                                        ; implicit-def: $vgpr16
	s_and_saveexec_b64 s[40:41], s[10:11]
	s_cbranch_execz .LBB28_36
; %bb.47:                               ;   in Loop: Header=BB28_37 Depth=2
	v_add_co_u32_e32 v22, vcc, 4, v22
	v_add_u32_e32 v16, 1, v15
	v_addc_co_u32_e32 v23, vcc, 0, v23, vcc
	v_cmp_ge_i32_e32 vcc, v16, v25
	v_add_u32_e32 v8, s15, v8
	s_orn2_b64 s[38:39], vcc, exec
	v_mov_b32_e32 v15, v25
	s_branch .LBB28_36
.LBB28_48:                              ;   in Loop: Header=BB28_19 Depth=1
	s_or_b64 exec, exec, s[36:37]
	v_mov_b32_e32 v15, v34
.LBB28_49:                              ;   in Loop: Header=BB28_19 Depth=1
	s_or_b64 exec, exec, s[16:17]
	s_waitcnt lgkmcnt(0)
	; wave barrier
	ds_read_b32 v6, v27
	s_waitcnt lgkmcnt(0)
	v_cmp_ne_u32_e32 vcc, 0, v6
	s_and_saveexec_b64 s[10:11], vcc
	s_cbranch_execz .LBB28_52
; %bb.50:                               ;   in Loop: Header=BB28_19 Depth=1
	v_add_u32_e32 v8, s14, v18
	v_ashrrev_i32_e32 v18, 31, v17
	v_lshlrev_b64 v[6:7], 2, v[17:18]
	v_mov_b32_e32 v16, s21
	v_add_co_u32_e32 v6, vcc, s20, v6
	v_addc_co_u32_e32 v7, vcc, v16, v7, vcc
	global_store_dword v[6:7], v8, off
	s_and_b64 exec, exec, s[4:5]
	s_cbranch_execz .LBB28_52
; %bb.51:                               ;   in Loop: Header=BB28_19 Depth=1
	s_waitcnt vmcnt(0)
	v_mad_u64_u32 v[6:7], s[16:17], v17, s19, v[0:1]
	ds_read2_b64 v[34:37], v32 offset1:1
	v_mov_b32_e32 v8, s23
	v_mad_u64_u32 v[6:7], s[16:17], v6, s19, v[21:22]
	v_ashrrev_i32_e32 v7, 31, v6
	v_lshlrev_b64 v[6:7], 4, v[6:7]
	v_add_co_u32_e32 v6, vcc, s22, v6
	v_addc_co_u32_e32 v7, vcc, v8, v7, vcc
	s_waitcnt lgkmcnt(0)
	global_store_dwordx4 v[6:7], v[34:37], off
.LBB28_52:                              ;   in Loop: Header=BB28_19 Depth=1
	s_or_b64 exec, exec, s[10:11]
	v_cmp_le_i32_e32 vcc, s18, v14
	v_cndmask_b32_e64 v6, 0, 1, vcc
	; wave barrier
	; wave barrier
	ds_write_b32 v26, v6
	s_waitcnt lgkmcnt(0)
	; wave barrier
	s_and_saveexec_b64 s[10:11], s[6:7]
	s_cbranch_execz .LBB28_54
; %bb.53:                               ;   in Loop: Header=BB28_19 Depth=1
	ds_read2_b32 v[6:7], v31 offset1:2
	s_waitcnt lgkmcnt(0)
	v_add_u32_e32 v6, v7, v6
	ds_write_b32 v31, v6
.LBB28_54:                              ;   in Loop: Header=BB28_19 Depth=1
	s_or_b64 exec, exec, s[10:11]
	s_waitcnt lgkmcnt(0)
	; wave barrier
	s_and_saveexec_b64 s[10:11], s[8:9]
	s_cbranch_execz .LBB28_18
; %bb.55:                               ;   in Loop: Header=BB28_19 Depth=1
	ds_read_b64 v[6:7], v5 offset:1024
	s_waitcnt lgkmcnt(0)
	v_add_u32_e32 v6, v7, v6
	ds_write_b32 v5, v6 offset:1024
	s_branch .LBB28_18
.LBB28_56:
	s_endpgm
	.section	.rodata,"a",@progbits
	.p2align	6, 0x0
	.amdhsa_kernel _ZN9rocsparseL35bsrgeam_wf_per_row_multipass_kernelILj64ELj4E21rocsparse_complex_numIdEEEv20rocsparse_direction_iiiNS_24const_host_device_scalarIT1_EEPKiS8_PKS5_S6_S8_S8_SA_S8_PiPS5_21rocsparse_index_base_SD_SD_b
		.amdhsa_group_segment_fixed_size 1056
		.amdhsa_private_segment_fixed_size 16
		.amdhsa_kernarg_size 136
		.amdhsa_user_sgpr_count 8
		.amdhsa_user_sgpr_private_segment_buffer 1
		.amdhsa_user_sgpr_dispatch_ptr 0
		.amdhsa_user_sgpr_queue_ptr 0
		.amdhsa_user_sgpr_kernarg_segment_ptr 1
		.amdhsa_user_sgpr_dispatch_id 0
		.amdhsa_user_sgpr_flat_scratch_init 1
		.amdhsa_user_sgpr_private_segment_size 0
		.amdhsa_uses_dynamic_stack 0
		.amdhsa_system_sgpr_private_segment_wavefront_offset 1
		.amdhsa_system_sgpr_workgroup_id_x 1
		.amdhsa_system_sgpr_workgroup_id_y 0
		.amdhsa_system_sgpr_workgroup_id_z 0
		.amdhsa_system_sgpr_workgroup_info 0
		.amdhsa_system_vgpr_workitem_id 0
		.amdhsa_next_free_vgpr 42
		.amdhsa_next_free_sgpr 44
		.amdhsa_reserve_vcc 1
		.amdhsa_reserve_flat_scratch 1
		.amdhsa_float_round_mode_32 0
		.amdhsa_float_round_mode_16_64 0
		.amdhsa_float_denorm_mode_32 3
		.amdhsa_float_denorm_mode_16_64 3
		.amdhsa_dx10_clamp 1
		.amdhsa_ieee_mode 1
		.amdhsa_fp16_overflow 0
		.amdhsa_exception_fp_ieee_invalid_op 0
		.amdhsa_exception_fp_denorm_src 0
		.amdhsa_exception_fp_ieee_div_zero 0
		.amdhsa_exception_fp_ieee_overflow 0
		.amdhsa_exception_fp_ieee_underflow 0
		.amdhsa_exception_fp_ieee_inexact 0
		.amdhsa_exception_int_div_zero 0
	.end_amdhsa_kernel
	.section	.text._ZN9rocsparseL35bsrgeam_wf_per_row_multipass_kernelILj64ELj4E21rocsparse_complex_numIdEEEv20rocsparse_direction_iiiNS_24const_host_device_scalarIT1_EEPKiS8_PKS5_S6_S8_S8_SA_S8_PiPS5_21rocsparse_index_base_SD_SD_b,"axG",@progbits,_ZN9rocsparseL35bsrgeam_wf_per_row_multipass_kernelILj64ELj4E21rocsparse_complex_numIdEEEv20rocsparse_direction_iiiNS_24const_host_device_scalarIT1_EEPKiS8_PKS5_S6_S8_S8_SA_S8_PiPS5_21rocsparse_index_base_SD_SD_b,comdat
.Lfunc_end28:
	.size	_ZN9rocsparseL35bsrgeam_wf_per_row_multipass_kernelILj64ELj4E21rocsparse_complex_numIdEEEv20rocsparse_direction_iiiNS_24const_host_device_scalarIT1_EEPKiS8_PKS5_S6_S8_S8_SA_S8_PiPS5_21rocsparse_index_base_SD_SD_b, .Lfunc_end28-_ZN9rocsparseL35bsrgeam_wf_per_row_multipass_kernelILj64ELj4E21rocsparse_complex_numIdEEEv20rocsparse_direction_iiiNS_24const_host_device_scalarIT1_EEPKiS8_PKS5_S6_S8_S8_SA_S8_PiPS5_21rocsparse_index_base_SD_SD_b
                                        ; -- End function
	.set _ZN9rocsparseL35bsrgeam_wf_per_row_multipass_kernelILj64ELj4E21rocsparse_complex_numIdEEEv20rocsparse_direction_iiiNS_24const_host_device_scalarIT1_EEPKiS8_PKS5_S6_S8_S8_SA_S8_PiPS5_21rocsparse_index_base_SD_SD_b.num_vgpr, 42
	.set _ZN9rocsparseL35bsrgeam_wf_per_row_multipass_kernelILj64ELj4E21rocsparse_complex_numIdEEEv20rocsparse_direction_iiiNS_24const_host_device_scalarIT1_EEPKiS8_PKS5_S6_S8_S8_SA_S8_PiPS5_21rocsparse_index_base_SD_SD_b.num_agpr, 0
	.set _ZN9rocsparseL35bsrgeam_wf_per_row_multipass_kernelILj64ELj4E21rocsparse_complex_numIdEEEv20rocsparse_direction_iiiNS_24const_host_device_scalarIT1_EEPKiS8_PKS5_S6_S8_S8_SA_S8_PiPS5_21rocsparse_index_base_SD_SD_b.numbered_sgpr, 44
	.set _ZN9rocsparseL35bsrgeam_wf_per_row_multipass_kernelILj64ELj4E21rocsparse_complex_numIdEEEv20rocsparse_direction_iiiNS_24const_host_device_scalarIT1_EEPKiS8_PKS5_S6_S8_S8_SA_S8_PiPS5_21rocsparse_index_base_SD_SD_b.num_named_barrier, 0
	.set _ZN9rocsparseL35bsrgeam_wf_per_row_multipass_kernelILj64ELj4E21rocsparse_complex_numIdEEEv20rocsparse_direction_iiiNS_24const_host_device_scalarIT1_EEPKiS8_PKS5_S6_S8_S8_SA_S8_PiPS5_21rocsparse_index_base_SD_SD_b.private_seg_size, 16
	.set _ZN9rocsparseL35bsrgeam_wf_per_row_multipass_kernelILj64ELj4E21rocsparse_complex_numIdEEEv20rocsparse_direction_iiiNS_24const_host_device_scalarIT1_EEPKiS8_PKS5_S6_S8_S8_SA_S8_PiPS5_21rocsparse_index_base_SD_SD_b.uses_vcc, 1
	.set _ZN9rocsparseL35bsrgeam_wf_per_row_multipass_kernelILj64ELj4E21rocsparse_complex_numIdEEEv20rocsparse_direction_iiiNS_24const_host_device_scalarIT1_EEPKiS8_PKS5_S6_S8_S8_SA_S8_PiPS5_21rocsparse_index_base_SD_SD_b.uses_flat_scratch, 1
	.set _ZN9rocsparseL35bsrgeam_wf_per_row_multipass_kernelILj64ELj4E21rocsparse_complex_numIdEEEv20rocsparse_direction_iiiNS_24const_host_device_scalarIT1_EEPKiS8_PKS5_S6_S8_S8_SA_S8_PiPS5_21rocsparse_index_base_SD_SD_b.has_dyn_sized_stack, 0
	.set _ZN9rocsparseL35bsrgeam_wf_per_row_multipass_kernelILj64ELj4E21rocsparse_complex_numIdEEEv20rocsparse_direction_iiiNS_24const_host_device_scalarIT1_EEPKiS8_PKS5_S6_S8_S8_SA_S8_PiPS5_21rocsparse_index_base_SD_SD_b.has_recursion, 0
	.set _ZN9rocsparseL35bsrgeam_wf_per_row_multipass_kernelILj64ELj4E21rocsparse_complex_numIdEEEv20rocsparse_direction_iiiNS_24const_host_device_scalarIT1_EEPKiS8_PKS5_S6_S8_S8_SA_S8_PiPS5_21rocsparse_index_base_SD_SD_b.has_indirect_call, 0
	.section	.AMDGPU.csdata,"",@progbits
; Kernel info:
; codeLenInByte = 2148
; TotalNumSgprs: 50
; NumVgprs: 42
; ScratchSize: 16
; MemoryBound: 0
; FloatMode: 240
; IeeeMode: 1
; LDSByteSize: 1056 bytes/workgroup (compile time only)
; SGPRBlocks: 6
; VGPRBlocks: 10
; NumSGPRsForWavesPerEU: 50
; NumVGPRsForWavesPerEU: 42
; Occupancy: 5
; WaveLimiterHint : 1
; COMPUTE_PGM_RSRC2:SCRATCH_EN: 1
; COMPUTE_PGM_RSRC2:USER_SGPR: 8
; COMPUTE_PGM_RSRC2:TRAP_HANDLER: 0
; COMPUTE_PGM_RSRC2:TGID_X_EN: 1
; COMPUTE_PGM_RSRC2:TGID_Y_EN: 0
; COMPUTE_PGM_RSRC2:TGID_Z_EN: 0
; COMPUTE_PGM_RSRC2:TIDIG_COMP_CNT: 0
	.section	.text._ZN9rocsparseL35bsrgeam_wf_per_row_multipass_kernelILj64ELj8E21rocsparse_complex_numIdEEEv20rocsparse_direction_iiiNS_24const_host_device_scalarIT1_EEPKiS8_PKS5_S6_S8_S8_SA_S8_PiPS5_21rocsparse_index_base_SD_SD_b,"axG",@progbits,_ZN9rocsparseL35bsrgeam_wf_per_row_multipass_kernelILj64ELj8E21rocsparse_complex_numIdEEEv20rocsparse_direction_iiiNS_24const_host_device_scalarIT1_EEPKiS8_PKS5_S6_S8_S8_SA_S8_PiPS5_21rocsparse_index_base_SD_SD_b,comdat
	.globl	_ZN9rocsparseL35bsrgeam_wf_per_row_multipass_kernelILj64ELj8E21rocsparse_complex_numIdEEEv20rocsparse_direction_iiiNS_24const_host_device_scalarIT1_EEPKiS8_PKS5_S6_S8_S8_SA_S8_PiPS5_21rocsparse_index_base_SD_SD_b ; -- Begin function _ZN9rocsparseL35bsrgeam_wf_per_row_multipass_kernelILj64ELj8E21rocsparse_complex_numIdEEEv20rocsparse_direction_iiiNS_24const_host_device_scalarIT1_EEPKiS8_PKS5_S6_S8_S8_SA_S8_PiPS5_21rocsparse_index_base_SD_SD_b
	.p2align	8
	.type	_ZN9rocsparseL35bsrgeam_wf_per_row_multipass_kernelILj64ELj8E21rocsparse_complex_numIdEEEv20rocsparse_direction_iiiNS_24const_host_device_scalarIT1_EEPKiS8_PKS5_S6_S8_S8_SA_S8_PiPS5_21rocsparse_index_base_SD_SD_b,@function
_ZN9rocsparseL35bsrgeam_wf_per_row_multipass_kernelILj64ELj8E21rocsparse_complex_numIdEEEv20rocsparse_direction_iiiNS_24const_host_device_scalarIT1_EEPKiS8_PKS5_S6_S8_S8_SA_S8_PiPS5_21rocsparse_index_base_SD_SD_b: ; @_ZN9rocsparseL35bsrgeam_wf_per_row_multipass_kernelILj64ELj8E21rocsparse_complex_numIdEEEv20rocsparse_direction_iiiNS_24const_host_device_scalarIT1_EEPKiS8_PKS5_S6_S8_S8_SA_S8_PiPS5_21rocsparse_index_base_SD_SD_b
; %bb.0:
	s_add_u32 flat_scratch_lo, s6, s9
	s_addc_u32 flat_scratch_hi, s7, 0
	s_load_dwordx4 s[12:15], s[4:5], 0x78
	s_load_dwordx4 s[16:19], s[4:5], 0x10
	s_load_dwordx2 s[20:21], s[4:5], 0x20
	s_add_u32 s0, s0, s9
	s_addc_u32 s1, s1, 0
	s_waitcnt lgkmcnt(0)
	s_bitcmp1_b32 s15, 0
	s_cselect_b64 s[6:7], -1, 0
	s_mov_b64 s[10:11], src_private_base
	v_mov_b32_e32 v1, s17
	s_and_b64 vcc, s[6:7], exec
	buffer_store_dword v1, off, s[0:3], 0 offset:4
	v_mov_b32_e32 v1, s16
	s_cselect_b32 s9, s11, s17
	s_cselect_b32 s10, 0, s16
	buffer_store_dword v1, off, s[0:3], 0
	v_mov_b32_e32 v1, s10
	v_mov_b32_e32 v2, s9
	flat_load_dwordx2 v[9:10], v[1:2]
	v_mov_b32_e32 v11, s18
	v_mov_b32_e32 v12, s19
	s_cbranch_vccnz .LBB29_2
; %bb.1:
	v_mov_b32_e32 v1, s16
	v_mov_b32_e32 v2, s17
	flat_load_dwordx2 v[11:12], v[1:2] offset:8
.LBB29_2:
	s_load_dwordx2 s[10:11], s[4:5], 0x38
	s_load_dwordx4 s[16:19], s[4:5], 0x0
	s_add_u32 s9, s4, 56
	s_addc_u32 s15, s5, 0
	s_and_b64 s[6:7], s[6:7], exec
	s_waitcnt lgkmcnt(0)
	s_cselect_b32 s6, s15, s11
	s_cselect_b32 s7, s9, s10
	v_mov_b32_e32 v1, s7
	v_mov_b32_e32 v2, s6
	flat_load_dwordx4 v[1:4], v[1:2]
	s_cmp_ge_i32 s8, s17
	s_cselect_b64 s[6:7], -1, 0
	s_cmp_lt_i32 s8, s17
	v_mov_b32_e32 v24, 0
	v_mov_b32_e32 v5, s8
	s_cselect_b64 s[10:11], -1, 0
	v_mov_b32_e32 v13, 0
	s_and_saveexec_b64 s[22:23], s[10:11]
	s_cbranch_execz .LBB29_4
; %bb.3:
	v_ashrrev_i32_e64 v6, 31, s8
	v_lshlrev_b64 v[6:7], 2, v[5:6]
	v_mov_b32_e32 v8, s21
	v_add_co_u32_e32 v6, vcc, s20, v6
	v_addc_co_u32_e32 v7, vcc, v8, v7, vcc
	global_load_dword v6, v[6:7], off
	s_waitcnt vmcnt(0)
	v_subrev_u32_e32 v13, s12, v6
.LBB29_4:
	s_or_b64 exec, exec, s[22:23]
	s_load_dwordx2 s[22:23], s[4:5], 0x48
	s_and_saveexec_b64 s[24:25], s[10:11]
	s_cbranch_execz .LBB29_6
; %bb.5:
	v_ashrrev_i32_e64 v6, 31, s8
	v_lshlrev_b64 v[6:7], 2, v[5:6]
	v_mov_b32_e32 v8, s21
	v_add_co_u32_e32 v6, vcc, s20, v6
	v_addc_co_u32_e32 v7, vcc, v8, v7, vcc
	global_load_dword v6, v[6:7], off offset:4
	s_waitcnt vmcnt(0)
	v_subrev_u32_e32 v24, s12, v6
.LBB29_6:
	s_or_b64 exec, exec, s[24:25]
	v_mov_b32_e32 v25, 0
	v_mov_b32_e32 v15, 0
	s_and_saveexec_b64 s[20:21], s[10:11]
	s_cbranch_execz .LBB29_8
; %bb.7:
	v_ashrrev_i32_e64 v6, 31, s8
	v_lshlrev_b64 v[6:7], 2, v[5:6]
	s_waitcnt lgkmcnt(0)
	v_mov_b32_e32 v8, s23
	v_add_co_u32_e32 v6, vcc, s22, v6
	v_addc_co_u32_e32 v7, vcc, v8, v7, vcc
	global_load_dword v6, v[6:7], off
	s_waitcnt vmcnt(0)
	v_subrev_u32_e32 v15, s13, v6
.LBB29_8:
	s_or_b64 exec, exec, s[20:21]
	s_and_saveexec_b64 s[20:21], s[10:11]
	s_cbranch_execz .LBB29_10
; %bb.9:
	v_ashrrev_i32_e64 v6, 31, s8
	v_lshlrev_b64 v[6:7], 2, v[5:6]
	s_waitcnt lgkmcnt(0)
	v_mov_b32_e32 v8, s23
	v_add_co_u32_e32 v6, vcc, s22, v6
	v_addc_co_u32_e32 v7, vcc, v8, v7, vcc
	global_load_dword v6, v[6:7], off offset:4
	s_waitcnt vmcnt(0)
	v_subrev_u32_e32 v25, s13, v6
.LBB29_10:
	s_or_b64 exec, exec, s[20:21]
	s_load_dwordx2 s[20:21], s[4:5], 0x28
	v_mov_b32_e32 v17, 0
	s_waitcnt lgkmcnt(0)
	s_and_saveexec_b64 s[22:23], s[10:11]
	s_cbranch_execz .LBB29_12
; %bb.11:
	s_load_dwordx2 s[10:11], s[4:5], 0x60
	v_ashrrev_i32_e64 v6, 31, s8
	v_lshlrev_b64 v[5:6], 2, v[5:6]
	s_waitcnt lgkmcnt(0)
	v_mov_b32_e32 v7, s11
	v_add_co_u32_e32 v5, vcc, s10, v5
	v_addc_co_u32_e32 v6, vcc, v7, v6, vcc
	global_load_dword v5, v[5:6], off
	s_waitcnt vmcnt(0)
	v_subrev_u32_e32 v17, s14, v5
.LBB29_12:
	s_or_b64 exec, exec, s[22:23]
	s_load_dwordx2 s[22:23], s[4:5], 0x50
	v_cmp_lt_i32_e32 vcc, v13, v24
	v_mov_b32_e32 v6, s18
	s_and_saveexec_b64 s[8:9], vcc
	s_cbranch_execz .LBB29_14
; %bb.13:
	v_ashrrev_i32_e32 v14, 31, v13
	v_lshlrev_b64 v[5:6], 2, v[13:14]
	v_mov_b32_e32 v7, s21
	v_add_co_u32_e32 v5, vcc, s20, v5
	v_addc_co_u32_e32 v6, vcc, v7, v6, vcc
	global_load_dword v5, v[5:6], off
	s_waitcnt vmcnt(0)
	v_subrev_u32_e32 v6, s12, v5
.LBB29_14:
	s_or_b64 exec, exec, s[8:9]
	v_cmp_lt_i32_e32 vcc, v15, v25
	v_mov_b32_e32 v7, s18
	s_and_saveexec_b64 s[8:9], vcc
	s_cbranch_execz .LBB29_16
; %bb.15:
	v_ashrrev_i32_e32 v16, 31, v15
	v_lshlrev_b64 v[7:8], 2, v[15:16]
	s_waitcnt lgkmcnt(0)
	v_mov_b32_e32 v5, s23
	v_add_co_u32_e32 v7, vcc, s22, v7
	v_addc_co_u32_e32 v8, vcc, v5, v8, vcc
	global_load_dword v5, v[7:8], off
	s_waitcnt vmcnt(0)
	v_subrev_u32_e32 v7, s13, v5
.LBB29_16:
	s_or_b64 exec, exec, s[8:9]
	v_cndmask_b32_e64 v8, 0, 1, s[6:7]
	v_mov_b32_e32 v5, 0
	ds_write_b32 v5, v8 offset:1024
	s_waitcnt lgkmcnt(0)
	; wave barrier
	ds_read_b32 v8, v5 offset:1024
	s_waitcnt lgkmcnt(0)
	v_cmp_ne_u32_e32 vcc, 0, v8
	s_cbranch_vccz .LBB29_18
.LBB29_17:
	s_endpgm
.LBB29_18:
	s_load_dwordx4 s[8:11], s[4:5], 0x68
	s_load_dwordx2 s[24:25], s[4:5], 0x58
	s_load_dwordx2 s[26:27], s[4:5], 0x30
	v_and_b32_e32 v19, 7, v0
	v_lshrrev_b32_e32 v20, 3, v0
	v_lshlrev_b32_e32 v28, 4, v0
	v_max_i32_e32 v0, v20, v19
	v_cmp_gt_i32_e64 s[4:5], s19, v0
	s_cmp_lg_u32 s16, 0
	v_lshlrev_b32_e32 v0, 4, v19
	s_cselect_b64 s[28:29], -1, 0
	s_cmp_eq_u32 s16, 0
	v_lshl_or_b32 v29, v20, 7, v0
	v_lshlrev_b32_e32 v0, 4, v20
	v_lshl_or_b32 v30, v19, 7, v0
	s_cselect_b64 vcc, -1, 0
	v_mov_b32_e32 v26, 0x400
	v_min_i32_e32 v14, v7, v6
	v_mov_b32_e32 v27, 0x404
	v_cndmask_b32_e32 v0, v20, v19, vcc
	v_cndmask_b32_e32 v21, v19, v20, vcc
	;; [unrolled: 1-line block ×3, first 2 shown]
	s_mul_i32 s15, s19, s19
	v_mov_b32_e32 v32, 1
	s_branch .LBB29_20
.LBB29_19:                              ;   in Loop: Header=BB29_20 Depth=1
	s_or_b64 exec, exec, s[6:7]
	v_cmp_le_i32_e32 vcc, s18, v14
	v_cndmask_b32_e64 v6, 0, 1, vcc
	; wave barrier
	; wave barrier
	ds_write_b32 v26, v6
	s_waitcnt lgkmcnt(0)
	; wave barrier
	ds_read_b32 v6, v5 offset:1024
	v_add_u32_e32 v17, 1, v17
	s_waitcnt lgkmcnt(0)
	v_cmp_eq_u32_e32 vcc, 0, v6
	s_cbranch_vccz .LBB29_17
.LBB29_20:                              ; =>This Loop Header: Depth=1
                                        ;     Child Loop BB29_23 Depth 2
                                        ;     Child Loop BB29_38 Depth 2
	v_mov_b32_e32 v18, v14
	v_mov_b32_e32 v6, v5
	;; [unrolled: 1-line block ×4, first 2 shown]
	v_cmp_lt_i32_e32 vcc, v13, v24
	v_mov_b32_e32 v14, s18
	ds_write_b32 v27, v5
	ds_write_b128 v28, v[5:8]
	s_waitcnt lgkmcnt(0)
	; wave barrier
	s_and_saveexec_b64 s[16:17], vcc
	s_cbranch_execz .LBB29_35
; %bb.21:                               ;   in Loop: Header=BB29_20 Depth=1
	v_mul_lo_u32 v6, s19, v13
	v_ashrrev_i32_e32 v14, 31, v13
	v_lshlrev_b64 v[22:23], 2, v[13:14]
	s_mov_b64 s[30:31], 0
	v_add_u32_e32 v7, v19, v6
	v_add_u32_e32 v8, v20, v6
	v_mad_u64_u32 v[6:7], s[6:7], s19, v7, v[20:21]
	v_mad_u64_u32 v[7:8], s[6:7], s19, v8, v[19:20]
	v_mov_b32_e32 v8, s21
	v_add_co_u32_e32 v22, vcc, s20, v22
	v_addc_co_u32_e32 v23, vcc, v8, v23, vcc
	v_mov_b32_e32 v8, 0
	v_mov_b32_e32 v14, s18
	s_branch .LBB29_23
.LBB29_22:                              ;   in Loop: Header=BB29_23 Depth=2
	s_or_b64 exec, exec, s[36:37]
	s_and_b64 s[6:7], exec, s[34:35]
	v_mov_b32_e32 v33, v13
	s_or_b64 s[30:31], s[6:7], s[30:31]
	v_mov_b32_e32 v13, v16
	s_andn2_b64 exec, exec, s[30:31]
	s_cbranch_execz .LBB29_34
.LBB29_23:                              ;   Parent Loop BB29_20 Depth=1
                                        ; =>  This Inner Loop Header: Depth=2
	global_load_dword v16, v[22:23], off
	s_waitcnt vmcnt(0)
	v_subrev_u32_e32 v16, s12, v16
	v_cmp_le_i32_e64 s[6:7], v16, v18
	s_and_saveexec_b64 s[34:35], s[6:7]
	s_xor_b64 s[34:35], exec, s[34:35]
	s_cbranch_execz .LBB29_30
; %bb.24:                               ;   in Loop: Header=BB29_23 Depth=2
	ds_write_b32 v27, v32
	s_and_saveexec_b64 s[36:37], s[4:5]
	s_cbranch_execz .LBB29_29
; %bb.25:                               ;   in Loop: Header=BB29_23 Depth=2
	s_mov_b64 s[38:39], -1
	s_and_b64 vcc, exec, s[28:29]
	s_cbranch_vccz .LBB29_27
; %bb.26:                               ;   in Loop: Header=BB29_23 Depth=2
	v_add_u32_e32 v33, v7, v8
	v_ashrrev_i32_e32 v34, 31, v33
	v_lshlrev_b64 v[33:34], 4, v[33:34]
	v_mov_b32_e32 v16, s27
	v_add_co_u32_e32 v33, vcc, s26, v33
	v_addc_co_u32_e32 v34, vcc, v16, v34, vcc
	global_load_dwordx4 v[33:36], v[33:34], off
	s_mov_b64 s[38:39], 0
	s_waitcnt vmcnt(0)
	v_mul_f64 v[37:38], v[35:36], -v[11:12]
	v_mul_f64 v[39:40], v[9:10], v[35:36]
	v_fma_f64 v[35:36], v[9:10], v[33:34], v[37:38]
	v_fma_f64 v[37:38], v[11:12], v[33:34], v[39:40]
	ds_write_b128 v29, v[35:38]
.LBB29_27:                              ;   in Loop: Header=BB29_23 Depth=2
	s_andn2_b64 vcc, exec, s[38:39]
	s_cbranch_vccnz .LBB29_29
; %bb.28:                               ;   in Loop: Header=BB29_23 Depth=2
	v_add_u32_e32 v33, v6, v8
	v_ashrrev_i32_e32 v34, 31, v33
	v_lshlrev_b64 v[33:34], 4, v[33:34]
	v_mov_b32_e32 v16, s27
	v_add_co_u32_e32 v33, vcc, s26, v33
	v_addc_co_u32_e32 v34, vcc, v16, v34, vcc
	global_load_dwordx4 v[33:36], v[33:34], off
	s_waitcnt vmcnt(0)
	v_mul_f64 v[37:38], v[35:36], -v[11:12]
	v_mul_f64 v[39:40], v[9:10], v[35:36]
	v_fma_f64 v[35:36], v[9:10], v[33:34], v[37:38]
	v_fma_f64 v[37:38], v[11:12], v[33:34], v[39:40]
	ds_write_b128 v30, v[35:38]
.LBB29_29:                              ;   in Loop: Header=BB29_23 Depth=2
	s_or_b64 exec, exec, s[36:37]
                                        ; implicit-def: $vgpr16
	s_andn2_saveexec_b64 s[34:35], s[34:35]
	s_branch .LBB29_31
.LBB29_30:                              ;   in Loop: Header=BB29_23 Depth=2
	s_andn2_saveexec_b64 s[34:35], s[34:35]
.LBB29_31:                              ;   in Loop: Header=BB29_23 Depth=2
	v_min_i32_e32 v14, v16, v14
; %bb.32:                               ;   in Loop: Header=BB29_23 Depth=2
	s_or_b64 exec, exec, s[34:35]
	s_mov_b64 s[34:35], -1
                                        ; implicit-def: $vgpr16
	s_and_saveexec_b64 s[36:37], s[6:7]
	s_cbranch_execz .LBB29_22
; %bb.33:                               ;   in Loop: Header=BB29_23 Depth=2
	v_add_co_u32_e32 v22, vcc, 4, v22
	v_add_u32_e32 v16, 1, v13
	v_addc_co_u32_e32 v23, vcc, 0, v23, vcc
	v_cmp_ge_i32_e32 vcc, v16, v24
	v_add_u32_e32 v8, s15, v8
	s_orn2_b64 s[34:35], vcc, exec
	v_mov_b32_e32 v13, v24
	s_branch .LBB29_22
.LBB29_34:                              ;   in Loop: Header=BB29_20 Depth=1
	s_or_b64 exec, exec, s[30:31]
	v_mov_b32_e32 v13, v33
.LBB29_35:                              ;   in Loop: Header=BB29_20 Depth=1
	s_or_b64 exec, exec, s[16:17]
	v_cmp_lt_i32_e32 vcc, v15, v25
	s_waitcnt lgkmcnt(0)
	; wave barrier
	s_and_saveexec_b64 s[16:17], vcc
	s_cbranch_execz .LBB29_50
; %bb.36:                               ;   in Loop: Header=BB29_20 Depth=1
	v_mul_lo_u32 v6, s19, v15
	v_ashrrev_i32_e32 v16, 31, v15
	v_lshlrev_b64 v[22:23], 2, v[15:16]
	s_mov_b64 s[30:31], 0
	v_add_u32_e32 v7, v19, v6
	v_add_u32_e32 v8, v20, v6
	v_mad_u64_u32 v[6:7], s[6:7], s19, v7, v[20:21]
	v_mad_u64_u32 v[7:8], s[6:7], s19, v8, v[19:20]
	v_mov_b32_e32 v8, s23
	v_add_co_u32_e32 v22, vcc, s22, v22
	v_addc_co_u32_e32 v23, vcc, v8, v23, vcc
	v_mov_b32_e32 v8, 0
	s_branch .LBB29_38
.LBB29_37:                              ;   in Loop: Header=BB29_38 Depth=2
	s_or_b64 exec, exec, s[36:37]
	s_and_b64 s[6:7], exec, s[34:35]
	v_mov_b32_e32 v33, v15
	s_or_b64 s[30:31], s[6:7], s[30:31]
	v_mov_b32_e32 v15, v16
	s_andn2_b64 exec, exec, s[30:31]
	s_cbranch_execz .LBB29_49
.LBB29_38:                              ;   Parent Loop BB29_20 Depth=1
                                        ; =>  This Inner Loop Header: Depth=2
	global_load_dword v16, v[22:23], off
	s_waitcnt vmcnt(0)
	v_subrev_u32_e32 v16, s13, v16
	v_cmp_le_i32_e64 s[6:7], v16, v18
	s_and_saveexec_b64 s[34:35], s[6:7]
	s_xor_b64 s[34:35], exec, s[34:35]
	s_cbranch_execz .LBB29_45
; %bb.39:                               ;   in Loop: Header=BB29_38 Depth=2
	ds_write_b32 v27, v32
	s_and_saveexec_b64 s[36:37], s[4:5]
	s_cbranch_execz .LBB29_44
; %bb.40:                               ;   in Loop: Header=BB29_38 Depth=2
	s_mov_b64 s[38:39], -1
	s_and_b64 vcc, exec, s[28:29]
	s_cbranch_vccz .LBB29_42
; %bb.41:                               ;   in Loop: Header=BB29_38 Depth=2
	v_add_u32_e32 v33, v7, v8
	v_ashrrev_i32_e32 v34, 31, v33
	v_lshlrev_b64 v[33:34], 4, v[33:34]
	v_mov_b32_e32 v16, s25
	v_add_co_u32_e32 v33, vcc, s24, v33
	v_addc_co_u32_e32 v34, vcc, v16, v34, vcc
	global_load_dwordx4 v[33:36], v[33:34], off
	ds_read_b128 v[37:40], v29
	s_mov_b64 s[38:39], 0
	s_waitcnt vmcnt(0) lgkmcnt(0)
	v_fma_f64 v[37:38], v[1:2], v[33:34], v[37:38]
	v_fma_f64 v[39:40], v[3:4], v[33:34], v[39:40]
	v_fma_f64 v[33:34], -v[3:4], v[35:36], v[37:38]
	v_fma_f64 v[35:36], v[1:2], v[35:36], v[39:40]
	ds_write_b128 v29, v[33:36]
.LBB29_42:                              ;   in Loop: Header=BB29_38 Depth=2
	s_andn2_b64 vcc, exec, s[38:39]
	s_cbranch_vccnz .LBB29_44
; %bb.43:                               ;   in Loop: Header=BB29_38 Depth=2
	v_add_u32_e32 v33, v6, v8
	v_ashrrev_i32_e32 v34, 31, v33
	v_lshlrev_b64 v[33:34], 4, v[33:34]
	v_mov_b32_e32 v16, s25
	v_add_co_u32_e32 v33, vcc, s24, v33
	v_addc_co_u32_e32 v34, vcc, v16, v34, vcc
	global_load_dwordx4 v[33:36], v[33:34], off
	ds_read_b128 v[37:40], v30
	s_waitcnt vmcnt(0) lgkmcnt(0)
	v_fma_f64 v[37:38], v[1:2], v[33:34], v[37:38]
	v_fma_f64 v[39:40], v[3:4], v[33:34], v[39:40]
	v_fma_f64 v[33:34], -v[3:4], v[35:36], v[37:38]
	v_fma_f64 v[35:36], v[1:2], v[35:36], v[39:40]
	ds_write_b128 v30, v[33:36]
.LBB29_44:                              ;   in Loop: Header=BB29_38 Depth=2
	s_or_b64 exec, exec, s[36:37]
                                        ; implicit-def: $vgpr16
	s_andn2_saveexec_b64 s[34:35], s[34:35]
	s_branch .LBB29_46
.LBB29_45:                              ;   in Loop: Header=BB29_38 Depth=2
	s_andn2_saveexec_b64 s[34:35], s[34:35]
.LBB29_46:                              ;   in Loop: Header=BB29_38 Depth=2
	v_min_i32_e32 v14, v16, v14
; %bb.47:                               ;   in Loop: Header=BB29_38 Depth=2
	s_or_b64 exec, exec, s[34:35]
	s_mov_b64 s[34:35], -1
                                        ; implicit-def: $vgpr16
	s_and_saveexec_b64 s[36:37], s[6:7]
	s_cbranch_execz .LBB29_37
; %bb.48:                               ;   in Loop: Header=BB29_38 Depth=2
	v_add_co_u32_e32 v22, vcc, 4, v22
	v_add_u32_e32 v16, 1, v15
	v_addc_co_u32_e32 v23, vcc, 0, v23, vcc
	v_cmp_ge_i32_e32 vcc, v16, v25
	v_add_u32_e32 v8, s15, v8
	s_orn2_b64 s[34:35], vcc, exec
	v_mov_b32_e32 v15, v25
	s_branch .LBB29_37
.LBB29_49:                              ;   in Loop: Header=BB29_20 Depth=1
	s_or_b64 exec, exec, s[30:31]
	v_mov_b32_e32 v15, v33
.LBB29_50:                              ;   in Loop: Header=BB29_20 Depth=1
	s_or_b64 exec, exec, s[16:17]
	s_waitcnt lgkmcnt(0)
	; wave barrier
	ds_read_b32 v6, v27
	s_waitcnt lgkmcnt(0)
	v_cmp_ne_u32_e32 vcc, 0, v6
	s_and_saveexec_b64 s[6:7], vcc
	s_cbranch_execz .LBB29_19
; %bb.51:                               ;   in Loop: Header=BB29_20 Depth=1
	v_add_u32_e32 v8, s14, v18
	v_ashrrev_i32_e32 v18, 31, v17
	v_lshlrev_b64 v[6:7], 2, v[17:18]
	v_mov_b32_e32 v16, s9
	v_add_co_u32_e32 v6, vcc, s8, v6
	v_addc_co_u32_e32 v7, vcc, v16, v7, vcc
	global_store_dword v[6:7], v8, off
	s_and_b64 exec, exec, s[4:5]
	s_cbranch_execz .LBB29_19
; %bb.52:                               ;   in Loop: Header=BB29_20 Depth=1
	s_waitcnt vmcnt(0)
	v_mad_u64_u32 v[6:7], s[16:17], v17, s19, v[0:1]
	ds_read2_b64 v[33:36], v31 offset1:1
	v_mov_b32_e32 v8, s11
	v_mad_u64_u32 v[6:7], s[16:17], v6, s19, v[21:22]
	v_ashrrev_i32_e32 v7, 31, v6
	v_lshlrev_b64 v[6:7], 4, v[6:7]
	v_add_co_u32_e32 v6, vcc, s10, v6
	v_addc_co_u32_e32 v7, vcc, v8, v7, vcc
	s_waitcnt lgkmcnt(0)
	global_store_dwordx4 v[6:7], v[33:36], off
	s_branch .LBB29_19
	.section	.rodata,"a",@progbits
	.p2align	6, 0x0
	.amdhsa_kernel _ZN9rocsparseL35bsrgeam_wf_per_row_multipass_kernelILj64ELj8E21rocsparse_complex_numIdEEEv20rocsparse_direction_iiiNS_24const_host_device_scalarIT1_EEPKiS8_PKS5_S6_S8_S8_SA_S8_PiPS5_21rocsparse_index_base_SD_SD_b
		.amdhsa_group_segment_fixed_size 1032
		.amdhsa_private_segment_fixed_size 16
		.amdhsa_kernarg_size 136
		.amdhsa_user_sgpr_count 8
		.amdhsa_user_sgpr_private_segment_buffer 1
		.amdhsa_user_sgpr_dispatch_ptr 0
		.amdhsa_user_sgpr_queue_ptr 0
		.amdhsa_user_sgpr_kernarg_segment_ptr 1
		.amdhsa_user_sgpr_dispatch_id 0
		.amdhsa_user_sgpr_flat_scratch_init 1
		.amdhsa_user_sgpr_private_segment_size 0
		.amdhsa_uses_dynamic_stack 0
		.amdhsa_system_sgpr_private_segment_wavefront_offset 1
		.amdhsa_system_sgpr_workgroup_id_x 1
		.amdhsa_system_sgpr_workgroup_id_y 0
		.amdhsa_system_sgpr_workgroup_id_z 0
		.amdhsa_system_sgpr_workgroup_info 0
		.amdhsa_system_vgpr_workitem_id 0
		.amdhsa_next_free_vgpr 41
		.amdhsa_next_free_sgpr 40
		.amdhsa_reserve_vcc 1
		.amdhsa_reserve_flat_scratch 1
		.amdhsa_float_round_mode_32 0
		.amdhsa_float_round_mode_16_64 0
		.amdhsa_float_denorm_mode_32 3
		.amdhsa_float_denorm_mode_16_64 3
		.amdhsa_dx10_clamp 1
		.amdhsa_ieee_mode 1
		.amdhsa_fp16_overflow 0
		.amdhsa_exception_fp_ieee_invalid_op 0
		.amdhsa_exception_fp_denorm_src 0
		.amdhsa_exception_fp_ieee_div_zero 0
		.amdhsa_exception_fp_ieee_overflow 0
		.amdhsa_exception_fp_ieee_underflow 0
		.amdhsa_exception_fp_ieee_inexact 0
		.amdhsa_exception_int_div_zero 0
	.end_amdhsa_kernel
	.section	.text._ZN9rocsparseL35bsrgeam_wf_per_row_multipass_kernelILj64ELj8E21rocsparse_complex_numIdEEEv20rocsparse_direction_iiiNS_24const_host_device_scalarIT1_EEPKiS8_PKS5_S6_S8_S8_SA_S8_PiPS5_21rocsparse_index_base_SD_SD_b,"axG",@progbits,_ZN9rocsparseL35bsrgeam_wf_per_row_multipass_kernelILj64ELj8E21rocsparse_complex_numIdEEEv20rocsparse_direction_iiiNS_24const_host_device_scalarIT1_EEPKiS8_PKS5_S6_S8_S8_SA_S8_PiPS5_21rocsparse_index_base_SD_SD_b,comdat
.Lfunc_end29:
	.size	_ZN9rocsparseL35bsrgeam_wf_per_row_multipass_kernelILj64ELj8E21rocsparse_complex_numIdEEEv20rocsparse_direction_iiiNS_24const_host_device_scalarIT1_EEPKiS8_PKS5_S6_S8_S8_SA_S8_PiPS5_21rocsparse_index_base_SD_SD_b, .Lfunc_end29-_ZN9rocsparseL35bsrgeam_wf_per_row_multipass_kernelILj64ELj8E21rocsparse_complex_numIdEEEv20rocsparse_direction_iiiNS_24const_host_device_scalarIT1_EEPKiS8_PKS5_S6_S8_S8_SA_S8_PiPS5_21rocsparse_index_base_SD_SD_b
                                        ; -- End function
	.set _ZN9rocsparseL35bsrgeam_wf_per_row_multipass_kernelILj64ELj8E21rocsparse_complex_numIdEEEv20rocsparse_direction_iiiNS_24const_host_device_scalarIT1_EEPKiS8_PKS5_S6_S8_S8_SA_S8_PiPS5_21rocsparse_index_base_SD_SD_b.num_vgpr, 41
	.set _ZN9rocsparseL35bsrgeam_wf_per_row_multipass_kernelILj64ELj8E21rocsparse_complex_numIdEEEv20rocsparse_direction_iiiNS_24const_host_device_scalarIT1_EEPKiS8_PKS5_S6_S8_S8_SA_S8_PiPS5_21rocsparse_index_base_SD_SD_b.num_agpr, 0
	.set _ZN9rocsparseL35bsrgeam_wf_per_row_multipass_kernelILj64ELj8E21rocsparse_complex_numIdEEEv20rocsparse_direction_iiiNS_24const_host_device_scalarIT1_EEPKiS8_PKS5_S6_S8_S8_SA_S8_PiPS5_21rocsparse_index_base_SD_SD_b.numbered_sgpr, 40
	.set _ZN9rocsparseL35bsrgeam_wf_per_row_multipass_kernelILj64ELj8E21rocsparse_complex_numIdEEEv20rocsparse_direction_iiiNS_24const_host_device_scalarIT1_EEPKiS8_PKS5_S6_S8_S8_SA_S8_PiPS5_21rocsparse_index_base_SD_SD_b.num_named_barrier, 0
	.set _ZN9rocsparseL35bsrgeam_wf_per_row_multipass_kernelILj64ELj8E21rocsparse_complex_numIdEEEv20rocsparse_direction_iiiNS_24const_host_device_scalarIT1_EEPKiS8_PKS5_S6_S8_S8_SA_S8_PiPS5_21rocsparse_index_base_SD_SD_b.private_seg_size, 16
	.set _ZN9rocsparseL35bsrgeam_wf_per_row_multipass_kernelILj64ELj8E21rocsparse_complex_numIdEEEv20rocsparse_direction_iiiNS_24const_host_device_scalarIT1_EEPKiS8_PKS5_S6_S8_S8_SA_S8_PiPS5_21rocsparse_index_base_SD_SD_b.uses_vcc, 1
	.set _ZN9rocsparseL35bsrgeam_wf_per_row_multipass_kernelILj64ELj8E21rocsparse_complex_numIdEEEv20rocsparse_direction_iiiNS_24const_host_device_scalarIT1_EEPKiS8_PKS5_S6_S8_S8_SA_S8_PiPS5_21rocsparse_index_base_SD_SD_b.uses_flat_scratch, 1
	.set _ZN9rocsparseL35bsrgeam_wf_per_row_multipass_kernelILj64ELj8E21rocsparse_complex_numIdEEEv20rocsparse_direction_iiiNS_24const_host_device_scalarIT1_EEPKiS8_PKS5_S6_S8_S8_SA_S8_PiPS5_21rocsparse_index_base_SD_SD_b.has_dyn_sized_stack, 0
	.set _ZN9rocsparseL35bsrgeam_wf_per_row_multipass_kernelILj64ELj8E21rocsparse_complex_numIdEEEv20rocsparse_direction_iiiNS_24const_host_device_scalarIT1_EEPKiS8_PKS5_S6_S8_S8_SA_S8_PiPS5_21rocsparse_index_base_SD_SD_b.has_recursion, 0
	.set _ZN9rocsparseL35bsrgeam_wf_per_row_multipass_kernelILj64ELj8E21rocsparse_complex_numIdEEEv20rocsparse_direction_iiiNS_24const_host_device_scalarIT1_EEPKiS8_PKS5_S6_S8_S8_SA_S8_PiPS5_21rocsparse_index_base_SD_SD_b.has_indirect_call, 0
	.section	.AMDGPU.csdata,"",@progbits
; Kernel info:
; codeLenInByte = 1968
; TotalNumSgprs: 46
; NumVgprs: 41
; ScratchSize: 16
; MemoryBound: 0
; FloatMode: 240
; IeeeMode: 1
; LDSByteSize: 1032 bytes/workgroup (compile time only)
; SGPRBlocks: 5
; VGPRBlocks: 10
; NumSGPRsForWavesPerEU: 46
; NumVGPRsForWavesPerEU: 41
; Occupancy: 5
; WaveLimiterHint : 1
; COMPUTE_PGM_RSRC2:SCRATCH_EN: 1
; COMPUTE_PGM_RSRC2:USER_SGPR: 8
; COMPUTE_PGM_RSRC2:TRAP_HANDLER: 0
; COMPUTE_PGM_RSRC2:TGID_X_EN: 1
; COMPUTE_PGM_RSRC2:TGID_Y_EN: 0
; COMPUTE_PGM_RSRC2:TGID_Z_EN: 0
; COMPUTE_PGM_RSRC2:TIDIG_COMP_CNT: 0
	.section	.text._ZN9rocsparseL39bsrgeam_block_per_row_multipass_kernel2ILj256ELj16E21rocsparse_complex_numIdEEEv20rocsparse_direction_iiiNS_24const_host_device_scalarIT1_EEPKiS8_PKS5_S6_S8_S8_SA_S8_PiPS5_21rocsparse_index_base_SD_SD_b,"axG",@progbits,_ZN9rocsparseL39bsrgeam_block_per_row_multipass_kernel2ILj256ELj16E21rocsparse_complex_numIdEEEv20rocsparse_direction_iiiNS_24const_host_device_scalarIT1_EEPKiS8_PKS5_S6_S8_S8_SA_S8_PiPS5_21rocsparse_index_base_SD_SD_b,comdat
	.globl	_ZN9rocsparseL39bsrgeam_block_per_row_multipass_kernel2ILj256ELj16E21rocsparse_complex_numIdEEEv20rocsparse_direction_iiiNS_24const_host_device_scalarIT1_EEPKiS8_PKS5_S6_S8_S8_SA_S8_PiPS5_21rocsparse_index_base_SD_SD_b ; -- Begin function _ZN9rocsparseL39bsrgeam_block_per_row_multipass_kernel2ILj256ELj16E21rocsparse_complex_numIdEEEv20rocsparse_direction_iiiNS_24const_host_device_scalarIT1_EEPKiS8_PKS5_S6_S8_S8_SA_S8_PiPS5_21rocsparse_index_base_SD_SD_b
	.p2align	8
	.type	_ZN9rocsparseL39bsrgeam_block_per_row_multipass_kernel2ILj256ELj16E21rocsparse_complex_numIdEEEv20rocsparse_direction_iiiNS_24const_host_device_scalarIT1_EEPKiS8_PKS5_S6_S8_S8_SA_S8_PiPS5_21rocsparse_index_base_SD_SD_b,@function
_ZN9rocsparseL39bsrgeam_block_per_row_multipass_kernel2ILj256ELj16E21rocsparse_complex_numIdEEEv20rocsparse_direction_iiiNS_24const_host_device_scalarIT1_EEPKiS8_PKS5_S6_S8_S8_SA_S8_PiPS5_21rocsparse_index_base_SD_SD_b: ; @_ZN9rocsparseL39bsrgeam_block_per_row_multipass_kernel2ILj256ELj16E21rocsparse_complex_numIdEEEv20rocsparse_direction_iiiNS_24const_host_device_scalarIT1_EEPKiS8_PKS5_S6_S8_S8_SA_S8_PiPS5_21rocsparse_index_base_SD_SD_b
; %bb.0:
	s_add_u32 flat_scratch_lo, s6, s9
	s_load_dwordx4 s[20:23], s[4:5], 0x78
	s_load_dwordx8 s[12:19], s[4:5], 0x10
	s_addc_u32 flat_scratch_hi, s7, 0
	s_add_u32 s0, s0, s9
	s_addc_u32 s1, s1, 0
	s_waitcnt lgkmcnt(0)
	s_bitcmp1_b32 s23, 0
	s_cselect_b64 s[6:7], -1, 0
	s_mov_b64 s[10:11], src_private_base
	v_mov_b32_e32 v1, s13
	s_and_b64 vcc, s[6:7], exec
	buffer_store_dword v1, off, s[0:3], 0 offset:4
	v_mov_b32_e32 v1, s12
	s_cselect_b32 s9, s11, s13
	s_cselect_b32 s10, 0, s12
	buffer_store_dword v1, off, s[0:3], 0
	v_mov_b32_e32 v1, s10
	v_mov_b32_e32 v2, s9
	flat_load_dwordx2 v[9:10], v[1:2]
	s_load_dwordx2 s[10:11], s[4:5], 0x60
	s_load_dwordx2 s[24:25], s[4:5], 0x48
	v_mov_b32_e32 v11, s14
	v_mov_b32_e32 v12, s15
	s_cbranch_vccnz .LBB30_2
; %bb.1:
	v_mov_b32_e32 v1, s12
	v_mov_b32_e32 v2, s13
	flat_load_dwordx2 v[11:12], v[1:2] offset:8
.LBB30_2:
	s_load_dwordx2 s[12:13], s[4:5], 0x38
	s_add_u32 s9, s4, 56
	s_addc_u32 s14, s5, 0
	s_and_b64 s[6:7], s[6:7], exec
	s_waitcnt lgkmcnt(0)
	s_cselect_b32 s6, s14, s13
	s_cselect_b32 s7, s9, s12
	v_mov_b32_e32 v1, s7
	v_mov_b32_e32 v2, s6
	flat_load_dwordx4 v[1:4], v[1:2]
	s_ashr_i32 s9, s8, 31
	s_lshl_b64 s[8:9], s[8:9], 2
	s_add_u32 s14, s16, s8
	s_addc_u32 s15, s17, s9
	s_load_dwordx2 s[28:29], s[14:15], 0x0
	s_load_dwordx2 s[6:7], s[4:5], 0x50
	;; [unrolled: 1-line block ×3, first 2 shown]
	s_waitcnt lgkmcnt(0)
	s_sub_i32 s14, s28, s20
	s_add_u32 s16, s24, s8
	s_addc_u32 s17, s25, s9
	s_load_dwordx2 s[30:31], s[16:17], 0x0
	s_add_u32 s26, s10, s8
	s_addc_u32 s27, s11, s9
	s_cmp_ge_i32 s28, s29
	s_mov_b32 s15, s12
	s_cbranch_scc1 .LBB30_4
; %bb.3:
	s_ashr_i32 s15, s14, 31
	s_lshl_b64 s[8:9], s[14:15], 2
	s_add_u32 s8, s18, s8
	s_addc_u32 s9, s19, s9
	s_load_dword s8, s[8:9], 0x0
	s_waitcnt lgkmcnt(0)
	s_sub_i32 s15, s8, s20
.LBB30_4:
	s_load_dwordx4 s[8:11], s[4:5], 0x68
	s_load_dwordx2 s[16:17], s[4:5], 0x58
	s_load_dwordx2 s[24:25], s[4:5], 0x30
	s_load_dword s28, s[26:27], 0x0
	s_waitcnt lgkmcnt(0)
	s_sub_i32 s26, s30, s21
	s_cmp_ge_i32 s30, s31
	s_mov_b32 s27, s12
	s_cbranch_scc1 .LBB30_6
; %bb.5:
	s_ashr_i32 s27, s26, 31
	s_lshl_b64 s[34:35], s[26:27], 2
	s_add_u32 s34, s6, s34
	s_addc_u32 s35, s7, s35
	s_load_dword s23, s[34:35], 0x0
	s_waitcnt lgkmcnt(0)
	s_sub_i32 s27, s23, s21
.LBB30_6:
	s_load_dword s30, s[4:5], 0x0
	v_and_b32_e32 v13, 15, v0
	v_lshrrev_b32_e32 v14, 4, v0
	v_cmp_gt_u32_e32 vcc, s13, v13
	v_cmp_gt_i32_e64 s[4:5], s13, v14
	s_sub_i32 s23, s29, s20
	s_sub_i32 s33, s31, s21
	;; [unrolled: 1-line block ×3, first 2 shown]
	s_min_i32 s29, s27, s15
	s_and_b64 s[4:5], vcc, s[4:5]
	s_waitcnt lgkmcnt(0)
	s_cmp_lg_u32 s30, 0
	v_lshlrev_b32_e32 v5, 8, v13
	s_movk_i32 s15, 0xf0
	v_mov_b32_e32 v16, 0
	v_lshlrev_b32_e32 v20, 4, v0
	s_cselect_b64 s[30:31], -1, 0
	v_and_or_b32 v0, v0, s15, v5
	s_mul_i32 s42, s13, s13
	v_mov_b32_e32 v5, v16
	v_mov_b32_e32 v6, v16
	;; [unrolled: 1-line block ×5, first 2 shown]
	s_branch .LBB30_9
.LBB30_7:                               ;   in Loop: Header=BB30_9 Depth=1
	s_or_b64 exec, exec, s[34:35]
.LBB30_8:                               ;   in Loop: Header=BB30_9 Depth=1
	s_waitcnt vmcnt(0)
	s_barrier
	ds_read_b32 v15, v16 offset:4096
	s_mov_b32 s29, s40
	s_waitcnt lgkmcnt(0)
	s_barrier
	v_readfirstlane_b32 s15, v15
	s_add_i32 s28, s15, s28
	s_cmp_lt_i32 s40, s12
	s_cbranch_scc0 .LBB30_47
.LBB30_9:                               ; =>This Loop Header: Depth=1
                                        ;     Child Loop BB30_11 Depth 2
                                        ;     Child Loop BB30_27 Depth 2
	s_cmp_ge_i32 s14, s23
	ds_write_b32 v16, v16 offset:4096
	ds_write_b128 v20, v[5:8]
	s_waitcnt vmcnt(0) lgkmcnt(0)
	s_barrier
	s_cbranch_scc1 .LBB30_24
; %bb.10:                               ;   in Loop: Header=BB30_9 Depth=1
	s_mul_i32 s15, s13, s14
	v_add_u32_e32 v15, s15, v14
	v_mad_u64_u32 v[17:18], s[34:35], s13, v15, v[13:14]
	v_add_u32_e32 v15, s15, v13
	v_mad_u64_u32 v[18:19], s[34:35], s13, v15, v[14:15]
	s_ashr_i32 s15, s14, 31
	s_lshl_b64 s[34:35], s[14:15], 2
	s_add_u32 s34, s18, s34
	s_addc_u32 s35, s19, s35
	s_mov_b32 s27, 0
	s_mov_b32 s43, s12
.LBB30_11:                              ;   Parent Loop BB30_9 Depth=1
                                        ; =>  This Inner Loop Header: Depth=2
	global_load_dword v15, v16, s[34:35]
	s_mov_b64 s[38:39], -1
	s_waitcnt vmcnt(0)
	v_readfirstlane_b32 s15, v15
	s_sub_i32 s40, s15, s20
	s_cmp_eq_u32 s40, s29
	s_cselect_b64 s[36:37], -1, 0
	s_cmp_lg_u32 s40, s29
                                        ; implicit-def: $sgpr15
	s_cbranch_scc1 .LBB30_15
; %bb.12:                               ;   in Loop: Header=BB30_11 Depth=2
	s_andn2_b64 vcc, exec, s[38:39]
	s_cbranch_vccz .LBB30_16
.LBB30_13:                              ;   in Loop: Header=BB30_11 Depth=2
	s_andn2_b64 vcc, exec, s[36:37]
	s_mov_b64 s[36:37], -1
	s_cbranch_vccnz .LBB30_21
.LBB30_14:                              ;   in Loop: Header=BB30_11 Depth=2
	s_add_i32 s14, s14, 1
	s_add_i32 s27, s27, s42
	s_add_u32 s34, s34, 4
	s_addc_u32 s35, s35, 0
	s_cmp_ge_i32 s14, s23
	s_cselect_b64 s[36:37], -1, 0
	s_andn2_b64 vcc, exec, s[36:37]
	s_cbranch_vccnz .LBB30_22
	s_branch .LBB30_25
.LBB30_15:                              ;   in Loop: Header=BB30_11 Depth=2
	s_min_i32 s15, s40, s43
	s_cbranch_execnz .LBB30_13
.LBB30_16:                              ;   in Loop: Header=BB30_11 Depth=2
	ds_write_b32 v16, v21 offset:4096
	s_and_saveexec_b64 s[38:39], s[4:5]
	s_cbranch_execz .LBB30_20
; %bb.17:                               ;   in Loop: Header=BB30_11 Depth=2
	s_and_b64 vcc, exec, s[30:31]
	s_cbranch_vccz .LBB30_23
; %bb.18:                               ;   in Loop: Header=BB30_11 Depth=2
	v_add_u32_e32 v15, s27, v18
	v_lshlrev_b64 v[22:23], 4, v[15:16]
	v_mov_b32_e32 v15, s25
	v_add_co_u32_e32 v22, vcc, s24, v22
	v_addc_co_u32_e32 v23, vcc, v15, v23, vcc
	global_load_dwordx4 v[22:25], v[22:23], off
	s_waitcnt vmcnt(0)
	v_mul_f64 v[26:27], v[24:25], -v[11:12]
	v_mul_f64 v[28:29], v[9:10], v[24:25]
	v_fma_f64 v[24:25], v[9:10], v[22:23], v[26:27]
	v_fma_f64 v[26:27], v[11:12], v[22:23], v[28:29]
	ds_write_b128 v0, v[24:27]
	s_cbranch_execnz .LBB30_20
.LBB30_19:                              ;   in Loop: Header=BB30_11 Depth=2
	v_add_u32_e32 v15, s27, v17
	v_lshlrev_b64 v[22:23], 4, v[15:16]
	v_mov_b32_e32 v15, s25
	v_add_co_u32_e32 v22, vcc, s24, v22
	v_addc_co_u32_e32 v23, vcc, v15, v23, vcc
	global_load_dwordx4 v[22:25], v[22:23], off
	s_waitcnt vmcnt(0)
	v_mul_f64 v[26:27], v[24:25], -v[11:12]
	v_mul_f64 v[28:29], v[9:10], v[24:25]
	v_fma_f64 v[24:25], v[9:10], v[22:23], v[26:27]
	v_fma_f64 v[26:27], v[11:12], v[22:23], v[28:29]
	ds_write_b128 v20, v[24:27]
.LBB30_20:                              ;   in Loop: Header=BB30_11 Depth=2
	s_or_b64 exec, exec, s[38:39]
	s_mov_b32 s15, s43
	s_andn2_b64 vcc, exec, s[36:37]
	s_mov_b64 s[36:37], -1
	s_cbranch_vccz .LBB30_14
.LBB30_21:                              ;   in Loop: Header=BB30_11 Depth=2
                                        ; implicit-def: $sgpr27
                                        ; implicit-def: $sgpr34_sgpr35
	s_andn2_b64 vcc, exec, s[36:37]
	s_cbranch_vccz .LBB30_25
.LBB30_22:                              ;   in Loop: Header=BB30_11 Depth=2
	s_mov_b32 s43, s15
	s_branch .LBB30_11
.LBB30_23:                              ;   in Loop: Header=BB30_11 Depth=2
	s_branch .LBB30_19
.LBB30_24:                              ;   in Loop: Header=BB30_9 Depth=1
	s_mov_b32 s15, s12
.LBB30_25:                              ;   in Loop: Header=BB30_9 Depth=1
	s_cmp_ge_i32 s26, s33
	s_waitcnt lgkmcnt(0)
	s_barrier
	s_cbranch_scc1 .LBB30_40
; %bb.26:                               ;   in Loop: Header=BB30_9 Depth=1
	s_mul_i32 s27, s13, s26
	v_add_u32_e32 v15, s27, v14
	v_mad_u64_u32 v[17:18], s[34:35], s13, v15, v[13:14]
	v_add_u32_e32 v15, s27, v13
	v_mad_u64_u32 v[18:19], s[34:35], s13, v15, v[14:15]
	s_ashr_i32 s27, s26, 31
	s_lshl_b64 s[34:35], s[26:27], 2
	s_add_u32 s34, s6, s34
	s_addc_u32 s35, s7, s35
	s_mov_b32 s27, 0
.LBB30_27:                              ;   Parent Loop BB30_9 Depth=1
                                        ; =>  This Inner Loop Header: Depth=2
	global_load_dword v15, v16, s[34:35]
	s_mov_b64 s[38:39], -1
                                        ; implicit-def: $sgpr40
	s_waitcnt vmcnt(0)
	v_readfirstlane_b32 s36, v15
	s_sub_i32 s41, s36, s21
	s_cmp_eq_u32 s41, s29
	s_cselect_b64 s[36:37], -1, 0
	s_cmp_lg_u32 s41, s29
	s_cbranch_scc1 .LBB30_31
; %bb.28:                               ;   in Loop: Header=BB30_27 Depth=2
	s_andn2_b64 vcc, exec, s[38:39]
	s_cbranch_vccz .LBB30_32
.LBB30_29:                              ;   in Loop: Header=BB30_27 Depth=2
	s_andn2_b64 vcc, exec, s[36:37]
	s_mov_b64 s[36:37], -1
	s_cbranch_vccnz .LBB30_37
.LBB30_30:                              ;   in Loop: Header=BB30_27 Depth=2
	s_add_i32 s26, s26, 1
	s_add_i32 s27, s27, s42
	s_add_u32 s34, s34, 4
	s_addc_u32 s35, s35, 0
	s_cmp_ge_i32 s26, s33
	s_cselect_b64 s[36:37], -1, 0
	s_andn2_b64 vcc, exec, s[36:37]
	s_cbranch_vccnz .LBB30_38
	s_branch .LBB30_41
.LBB30_31:                              ;   in Loop: Header=BB30_27 Depth=2
	s_min_i32 s40, s41, s15
	s_cbranch_execnz .LBB30_29
.LBB30_32:                              ;   in Loop: Header=BB30_27 Depth=2
	ds_write_b32 v16, v21 offset:4096
	s_and_saveexec_b64 s[38:39], s[4:5]
	s_cbranch_execz .LBB30_36
; %bb.33:                               ;   in Loop: Header=BB30_27 Depth=2
	s_and_b64 vcc, exec, s[30:31]
	s_cbranch_vccz .LBB30_39
; %bb.34:                               ;   in Loop: Header=BB30_27 Depth=2
	v_add_u32_e32 v15, s27, v18
	v_lshlrev_b64 v[22:23], 4, v[15:16]
	v_mov_b32_e32 v15, s17
	v_add_co_u32_e32 v22, vcc, s16, v22
	v_addc_co_u32_e32 v23, vcc, v15, v23, vcc
	global_load_dwordx4 v[22:25], v[22:23], off
	ds_read_b128 v[26:29], v0
	s_waitcnt vmcnt(0) lgkmcnt(0)
	v_fma_f64 v[26:27], v[1:2], v[22:23], v[26:27]
	v_fma_f64 v[28:29], v[3:4], v[22:23], v[28:29]
	v_fma_f64 v[22:23], -v[3:4], v[24:25], v[26:27]
	v_fma_f64 v[24:25], v[1:2], v[24:25], v[28:29]
	ds_write_b128 v0, v[22:25]
	s_cbranch_execnz .LBB30_36
.LBB30_35:                              ;   in Loop: Header=BB30_27 Depth=2
	v_add_u32_e32 v15, s27, v17
	v_lshlrev_b64 v[22:23], 4, v[15:16]
	v_mov_b32_e32 v15, s17
	v_add_co_u32_e32 v22, vcc, s16, v22
	v_addc_co_u32_e32 v23, vcc, v15, v23, vcc
	global_load_dwordx4 v[22:25], v[22:23], off
	ds_read_b128 v[26:29], v20
	s_waitcnt vmcnt(0) lgkmcnt(0)
	v_fma_f64 v[26:27], v[1:2], v[22:23], v[26:27]
	v_fma_f64 v[28:29], v[3:4], v[22:23], v[28:29]
	v_fma_f64 v[22:23], -v[3:4], v[24:25], v[26:27]
	v_fma_f64 v[24:25], v[1:2], v[24:25], v[28:29]
	ds_write_b128 v20, v[22:25]
.LBB30_36:                              ;   in Loop: Header=BB30_27 Depth=2
	s_or_b64 exec, exec, s[38:39]
	s_mov_b32 s40, s15
	s_andn2_b64 vcc, exec, s[36:37]
	s_mov_b64 s[36:37], -1
	s_cbranch_vccz .LBB30_30
.LBB30_37:                              ;   in Loop: Header=BB30_27 Depth=2
                                        ; implicit-def: $sgpr27
                                        ; implicit-def: $sgpr34_sgpr35
	s_andn2_b64 vcc, exec, s[36:37]
	s_cbranch_vccz .LBB30_41
.LBB30_38:                              ;   in Loop: Header=BB30_27 Depth=2
	s_mov_b32 s15, s40
	s_branch .LBB30_27
.LBB30_39:                              ;   in Loop: Header=BB30_27 Depth=2
	s_branch .LBB30_35
.LBB30_40:                              ;   in Loop: Header=BB30_9 Depth=1
	s_mov_b32 s40, s15
.LBB30_41:                              ;   in Loop: Header=BB30_9 Depth=1
	s_waitcnt lgkmcnt(0)
	s_barrier
	ds_read_b32 v15, v16 offset:4096
	s_waitcnt lgkmcnt(0)
	v_cmp_eq_u32_e32 vcc, 0, v15
	s_cbranch_vccnz .LBB30_8
; %bb.42:                               ;   in Loop: Header=BB30_9 Depth=1
	s_add_i32 s15, s29, s22
	s_ashr_i32 s29, s28, 31
	s_lshl_b64 s[34:35], s[28:29], 2
	s_add_u32 s34, s8, s34
	s_addc_u32 s35, s9, s35
	v_mov_b32_e32 v15, s15
	global_store_dword v16, v15, s[34:35]
	s_and_saveexec_b64 s[34:35], s[4:5]
	s_cbranch_execz .LBB30_7
; %bb.43:                               ;   in Loop: Header=BB30_9 Depth=1
	s_mul_i32 s15, s28, s13
	s_and_b64 vcc, exec, s[30:31]
	s_cbranch_vccz .LBB30_45
; %bb.44:                               ;   in Loop: Header=BB30_9 Depth=1
	v_add_u32_e32 v15, s15, v13
	v_mad_u64_u32 v[17:18], s[36:37], v15, s13, v[14:15]
	v_mov_b32_e32 v18, v16
	ds_read2_b64 v[22:25], v0 offset1:1
	v_lshlrev_b64 v[17:18], 4, v[17:18]
	v_mov_b32_e32 v15, s11
	v_add_co_u32_e32 v17, vcc, s10, v17
	v_addc_co_u32_e32 v18, vcc, v15, v18, vcc
	s_waitcnt lgkmcnt(0)
	global_store_dwordx4 v[17:18], v[22:25], off
	s_cbranch_execnz .LBB30_7
	s_branch .LBB30_46
.LBB30_45:                              ;   in Loop: Header=BB30_9 Depth=1
.LBB30_46:                              ;   in Loop: Header=BB30_9 Depth=1
	v_add_u32_e32 v15, s15, v14
	v_mad_u64_u32 v[17:18], s[36:37], v15, s13, v[13:14]
	v_mov_b32_e32 v18, v16
	ds_read2_b64 v[22:25], v20 offset1:1
	v_lshlrev_b64 v[17:18], 4, v[17:18]
	v_mov_b32_e32 v15, s11
	v_add_co_u32_e32 v17, vcc, s10, v17
	v_addc_co_u32_e32 v18, vcc, v15, v18, vcc
	s_waitcnt lgkmcnt(0)
	global_store_dwordx4 v[17:18], v[22:25], off
	s_branch .LBB30_7
.LBB30_47:
	s_endpgm
	.section	.rodata,"a",@progbits
	.p2align	6, 0x0
	.amdhsa_kernel _ZN9rocsparseL39bsrgeam_block_per_row_multipass_kernel2ILj256ELj16E21rocsparse_complex_numIdEEEv20rocsparse_direction_iiiNS_24const_host_device_scalarIT1_EEPKiS8_PKS5_S6_S8_S8_SA_S8_PiPS5_21rocsparse_index_base_SD_SD_b
		.amdhsa_group_segment_fixed_size 4104
		.amdhsa_private_segment_fixed_size 16
		.amdhsa_kernarg_size 136
		.amdhsa_user_sgpr_count 8
		.amdhsa_user_sgpr_private_segment_buffer 1
		.amdhsa_user_sgpr_dispatch_ptr 0
		.amdhsa_user_sgpr_queue_ptr 0
		.amdhsa_user_sgpr_kernarg_segment_ptr 1
		.amdhsa_user_sgpr_dispatch_id 0
		.amdhsa_user_sgpr_flat_scratch_init 1
		.amdhsa_user_sgpr_private_segment_size 0
		.amdhsa_uses_dynamic_stack 0
		.amdhsa_system_sgpr_private_segment_wavefront_offset 1
		.amdhsa_system_sgpr_workgroup_id_x 1
		.amdhsa_system_sgpr_workgroup_id_y 0
		.amdhsa_system_sgpr_workgroup_id_z 0
		.amdhsa_system_sgpr_workgroup_info 0
		.amdhsa_system_vgpr_workitem_id 0
		.amdhsa_next_free_vgpr 30
		.amdhsa_next_free_sgpr 44
		.amdhsa_reserve_vcc 1
		.amdhsa_reserve_flat_scratch 1
		.amdhsa_float_round_mode_32 0
		.amdhsa_float_round_mode_16_64 0
		.amdhsa_float_denorm_mode_32 3
		.amdhsa_float_denorm_mode_16_64 3
		.amdhsa_dx10_clamp 1
		.amdhsa_ieee_mode 1
		.amdhsa_fp16_overflow 0
		.amdhsa_exception_fp_ieee_invalid_op 0
		.amdhsa_exception_fp_denorm_src 0
		.amdhsa_exception_fp_ieee_div_zero 0
		.amdhsa_exception_fp_ieee_overflow 0
		.amdhsa_exception_fp_ieee_underflow 0
		.amdhsa_exception_fp_ieee_inexact 0
		.amdhsa_exception_int_div_zero 0
	.end_amdhsa_kernel
	.section	.text._ZN9rocsparseL39bsrgeam_block_per_row_multipass_kernel2ILj256ELj16E21rocsparse_complex_numIdEEEv20rocsparse_direction_iiiNS_24const_host_device_scalarIT1_EEPKiS8_PKS5_S6_S8_S8_SA_S8_PiPS5_21rocsparse_index_base_SD_SD_b,"axG",@progbits,_ZN9rocsparseL39bsrgeam_block_per_row_multipass_kernel2ILj256ELj16E21rocsparse_complex_numIdEEEv20rocsparse_direction_iiiNS_24const_host_device_scalarIT1_EEPKiS8_PKS5_S6_S8_S8_SA_S8_PiPS5_21rocsparse_index_base_SD_SD_b,comdat
.Lfunc_end30:
	.size	_ZN9rocsparseL39bsrgeam_block_per_row_multipass_kernel2ILj256ELj16E21rocsparse_complex_numIdEEEv20rocsparse_direction_iiiNS_24const_host_device_scalarIT1_EEPKiS8_PKS5_S6_S8_S8_SA_S8_PiPS5_21rocsparse_index_base_SD_SD_b, .Lfunc_end30-_ZN9rocsparseL39bsrgeam_block_per_row_multipass_kernel2ILj256ELj16E21rocsparse_complex_numIdEEEv20rocsparse_direction_iiiNS_24const_host_device_scalarIT1_EEPKiS8_PKS5_S6_S8_S8_SA_S8_PiPS5_21rocsparse_index_base_SD_SD_b
                                        ; -- End function
	.set _ZN9rocsparseL39bsrgeam_block_per_row_multipass_kernel2ILj256ELj16E21rocsparse_complex_numIdEEEv20rocsparse_direction_iiiNS_24const_host_device_scalarIT1_EEPKiS8_PKS5_S6_S8_S8_SA_S8_PiPS5_21rocsparse_index_base_SD_SD_b.num_vgpr, 30
	.set _ZN9rocsparseL39bsrgeam_block_per_row_multipass_kernel2ILj256ELj16E21rocsparse_complex_numIdEEEv20rocsparse_direction_iiiNS_24const_host_device_scalarIT1_EEPKiS8_PKS5_S6_S8_S8_SA_S8_PiPS5_21rocsparse_index_base_SD_SD_b.num_agpr, 0
	.set _ZN9rocsparseL39bsrgeam_block_per_row_multipass_kernel2ILj256ELj16E21rocsparse_complex_numIdEEEv20rocsparse_direction_iiiNS_24const_host_device_scalarIT1_EEPKiS8_PKS5_S6_S8_S8_SA_S8_PiPS5_21rocsparse_index_base_SD_SD_b.numbered_sgpr, 44
	.set _ZN9rocsparseL39bsrgeam_block_per_row_multipass_kernel2ILj256ELj16E21rocsparse_complex_numIdEEEv20rocsparse_direction_iiiNS_24const_host_device_scalarIT1_EEPKiS8_PKS5_S6_S8_S8_SA_S8_PiPS5_21rocsparse_index_base_SD_SD_b.num_named_barrier, 0
	.set _ZN9rocsparseL39bsrgeam_block_per_row_multipass_kernel2ILj256ELj16E21rocsparse_complex_numIdEEEv20rocsparse_direction_iiiNS_24const_host_device_scalarIT1_EEPKiS8_PKS5_S6_S8_S8_SA_S8_PiPS5_21rocsparse_index_base_SD_SD_b.private_seg_size, 16
	.set _ZN9rocsparseL39bsrgeam_block_per_row_multipass_kernel2ILj256ELj16E21rocsparse_complex_numIdEEEv20rocsparse_direction_iiiNS_24const_host_device_scalarIT1_EEPKiS8_PKS5_S6_S8_S8_SA_S8_PiPS5_21rocsparse_index_base_SD_SD_b.uses_vcc, 1
	.set _ZN9rocsparseL39bsrgeam_block_per_row_multipass_kernel2ILj256ELj16E21rocsparse_complex_numIdEEEv20rocsparse_direction_iiiNS_24const_host_device_scalarIT1_EEPKiS8_PKS5_S6_S8_S8_SA_S8_PiPS5_21rocsparse_index_base_SD_SD_b.uses_flat_scratch, 1
	.set _ZN9rocsparseL39bsrgeam_block_per_row_multipass_kernel2ILj256ELj16E21rocsparse_complex_numIdEEEv20rocsparse_direction_iiiNS_24const_host_device_scalarIT1_EEPKiS8_PKS5_S6_S8_S8_SA_S8_PiPS5_21rocsparse_index_base_SD_SD_b.has_dyn_sized_stack, 0
	.set _ZN9rocsparseL39bsrgeam_block_per_row_multipass_kernel2ILj256ELj16E21rocsparse_complex_numIdEEEv20rocsparse_direction_iiiNS_24const_host_device_scalarIT1_EEPKiS8_PKS5_S6_S8_S8_SA_S8_PiPS5_21rocsparse_index_base_SD_SD_b.has_recursion, 0
	.set _ZN9rocsparseL39bsrgeam_block_per_row_multipass_kernel2ILj256ELj16E21rocsparse_complex_numIdEEEv20rocsparse_direction_iiiNS_24const_host_device_scalarIT1_EEPKiS8_PKS5_S6_S8_S8_SA_S8_PiPS5_21rocsparse_index_base_SD_SD_b.has_indirect_call, 0
	.section	.AMDGPU.csdata,"",@progbits
; Kernel info:
; codeLenInByte = 1580
; TotalNumSgprs: 50
; NumVgprs: 30
; ScratchSize: 16
; MemoryBound: 0
; FloatMode: 240
; IeeeMode: 1
; LDSByteSize: 4104 bytes/workgroup (compile time only)
; SGPRBlocks: 6
; VGPRBlocks: 7
; NumSGPRsForWavesPerEU: 50
; NumVGPRsForWavesPerEU: 30
; Occupancy: 8
; WaveLimiterHint : 1
; COMPUTE_PGM_RSRC2:SCRATCH_EN: 1
; COMPUTE_PGM_RSRC2:USER_SGPR: 8
; COMPUTE_PGM_RSRC2:TRAP_HANDLER: 0
; COMPUTE_PGM_RSRC2:TGID_X_EN: 1
; COMPUTE_PGM_RSRC2:TGID_Y_EN: 0
; COMPUTE_PGM_RSRC2:TGID_Z_EN: 0
; COMPUTE_PGM_RSRC2:TIDIG_COMP_CNT: 0
	.section	.text._ZN9rocsparseL39bsrgeam_block_per_row_multipass_kernel2ILj256ELj32E21rocsparse_complex_numIdEEEv20rocsparse_direction_iiiNS_24const_host_device_scalarIT1_EEPKiS8_PKS5_S6_S8_S8_SA_S8_PiPS5_21rocsparse_index_base_SD_SD_b,"axG",@progbits,_ZN9rocsparseL39bsrgeam_block_per_row_multipass_kernel2ILj256ELj32E21rocsparse_complex_numIdEEEv20rocsparse_direction_iiiNS_24const_host_device_scalarIT1_EEPKiS8_PKS5_S6_S8_S8_SA_S8_PiPS5_21rocsparse_index_base_SD_SD_b,comdat
	.globl	_ZN9rocsparseL39bsrgeam_block_per_row_multipass_kernel2ILj256ELj32E21rocsparse_complex_numIdEEEv20rocsparse_direction_iiiNS_24const_host_device_scalarIT1_EEPKiS8_PKS5_S6_S8_S8_SA_S8_PiPS5_21rocsparse_index_base_SD_SD_b ; -- Begin function _ZN9rocsparseL39bsrgeam_block_per_row_multipass_kernel2ILj256ELj32E21rocsparse_complex_numIdEEEv20rocsparse_direction_iiiNS_24const_host_device_scalarIT1_EEPKiS8_PKS5_S6_S8_S8_SA_S8_PiPS5_21rocsparse_index_base_SD_SD_b
	.p2align	8
	.type	_ZN9rocsparseL39bsrgeam_block_per_row_multipass_kernel2ILj256ELj32E21rocsparse_complex_numIdEEEv20rocsparse_direction_iiiNS_24const_host_device_scalarIT1_EEPKiS8_PKS5_S6_S8_S8_SA_S8_PiPS5_21rocsparse_index_base_SD_SD_b,@function
_ZN9rocsparseL39bsrgeam_block_per_row_multipass_kernel2ILj256ELj32E21rocsparse_complex_numIdEEEv20rocsparse_direction_iiiNS_24const_host_device_scalarIT1_EEPKiS8_PKS5_S6_S8_S8_SA_S8_PiPS5_21rocsparse_index_base_SD_SD_b: ; @_ZN9rocsparseL39bsrgeam_block_per_row_multipass_kernel2ILj256ELj32E21rocsparse_complex_numIdEEEv20rocsparse_direction_iiiNS_24const_host_device_scalarIT1_EEPKiS8_PKS5_S6_S8_S8_SA_S8_PiPS5_21rocsparse_index_base_SD_SD_b
; %bb.0:
	s_add_u32 flat_scratch_lo, s6, s9
	s_load_dwordx4 s[20:23], s[4:5], 0x78
	s_load_dwordx8 s[12:19], s[4:5], 0x10
	s_addc_u32 flat_scratch_hi, s7, 0
	s_add_u32 s0, s0, s9
	s_addc_u32 s1, s1, 0
	s_waitcnt lgkmcnt(0)
	s_bitcmp1_b32 s23, 0
	s_cselect_b64 s[6:7], -1, 0
	s_mov_b64 s[10:11], src_private_base
	v_mov_b32_e32 v1, s13
	s_and_b64 vcc, s[6:7], exec
	buffer_store_dword v1, off, s[0:3], 0 offset:4
	v_mov_b32_e32 v1, s12
	s_cselect_b32 s9, s11, s13
	s_cselect_b32 s10, 0, s12
	buffer_store_dword v1, off, s[0:3], 0
	v_mov_b32_e32 v1, s10
	v_mov_b32_e32 v2, s9
	flat_load_dwordx2 v[9:10], v[1:2]
	s_load_dwordx2 s[10:11], s[4:5], 0x60
	s_load_dwordx2 s[24:25], s[4:5], 0x48
	v_mov_b32_e32 v11, s14
	v_mov_b32_e32 v12, s15
	s_cbranch_vccnz .LBB31_2
; %bb.1:
	v_mov_b32_e32 v1, s12
	v_mov_b32_e32 v2, s13
	flat_load_dwordx2 v[11:12], v[1:2] offset:8
.LBB31_2:
	s_load_dwordx2 s[12:13], s[4:5], 0x38
	s_add_u32 s9, s4, 56
	s_addc_u32 s14, s5, 0
	s_and_b64 s[6:7], s[6:7], exec
	s_waitcnt lgkmcnt(0)
	s_cselect_b32 s6, s14, s13
	s_cselect_b32 s7, s9, s12
	v_mov_b32_e32 v1, s7
	v_mov_b32_e32 v2, s6
	flat_load_dwordx4 v[1:4], v[1:2]
	s_ashr_i32 s9, s8, 31
	s_lshl_b64 s[8:9], s[8:9], 2
	s_add_u32 s14, s16, s8
	s_addc_u32 s15, s17, s9
	s_load_dwordx2 s[28:29], s[14:15], 0x0
	s_load_dwordx2 s[6:7], s[4:5], 0x50
	;; [unrolled: 1-line block ×3, first 2 shown]
	s_waitcnt lgkmcnt(0)
	s_sub_i32 s14, s28, s20
	s_add_u32 s16, s24, s8
	s_addc_u32 s17, s25, s9
	s_load_dwordx2 s[30:31], s[16:17], 0x0
	s_add_u32 s26, s10, s8
	s_addc_u32 s27, s11, s9
	s_cmp_ge_i32 s28, s29
	s_mov_b32 s15, s12
	s_cbranch_scc1 .LBB31_4
; %bb.3:
	s_ashr_i32 s15, s14, 31
	s_lshl_b64 s[8:9], s[14:15], 2
	s_add_u32 s8, s18, s8
	s_addc_u32 s9, s19, s9
	s_load_dword s8, s[8:9], 0x0
	s_waitcnt lgkmcnt(0)
	s_sub_i32 s15, s8, s20
.LBB31_4:
	s_load_dwordx4 s[8:11], s[4:5], 0x68
	s_load_dwordx2 s[16:17], s[4:5], 0x58
	s_load_dwordx2 s[24:25], s[4:5], 0x30
	s_load_dword s28, s[26:27], 0x0
	s_waitcnt lgkmcnt(0)
	s_sub_i32 s26, s30, s21
	s_cmp_ge_i32 s30, s31
	s_mov_b32 s27, s12
	s_cbranch_scc1 .LBB31_6
; %bb.5:
	s_ashr_i32 s27, s26, 31
	s_lshl_b64 s[34:35], s[26:27], 2
	s_add_u32 s34, s6, s34
	s_addc_u32 s35, s7, s35
	s_load_dword s23, s[34:35], 0x0
	s_waitcnt lgkmcnt(0)
	s_sub_i32 s27, s23, s21
.LBB31_6:
	s_load_dword s4, s[4:5], 0x0
	v_and_b32_e32 v13, 7, v0
	v_lshrrev_b32_e32 v0, 3, v0
	s_sub_i32 s23, s29, s20
	s_sub_i32 s33, s31, s21
	;; [unrolled: 1-line block ×3, first 2 shown]
	s_min_i32 s29, s27, s15
	v_lshlrev_b32_e32 v5, 9, v0
	s_movk_i32 s5, 0xfe10
	v_lshl_or_b32 v22, v13, 4, v5
	v_cmp_gt_i32_e32 vcc, s13, v0
	v_mad_i32_i24 v5, v0, s5, v5
	s_waitcnt lgkmcnt(0)
	s_cmp_lg_u32 s4, 0
	v_cmp_gt_u32_e64 s[4:5], s13, v13
	v_or_b32_e32 v27, 8, v13
	s_cselect_b64 s[30:31], -1, 0
	s_and_b64 s[34:35], vcc, s[4:5]
	v_cmp_gt_u32_e64 s[4:5], s13, v27
	v_or_b32_e32 v29, 16, v13
	s_mov_b32 s44, 0
	s_and_b64 s[36:37], vcc, s[4:5]
	v_cmp_gt_u32_e64 s[4:5], s13, v29
	v_or_b32_e32 v31, 24, v13
	v_lshl_add_u32 v26, v13, 9, v5
	v_lshl_add_u32 v28, v27, 9, v5
	s_and_b64 s[38:39], vcc, s[4:5]
	v_lshl_add_u32 v30, v29, 9, v5
	v_cmp_gt_u32_e64 s[4:5], s13, v31
	v_lshl_add_u32 v32, v31, 9, v5
	s_mov_b32 s45, s44
	s_mov_b32 s46, s44
	;; [unrolled: 1-line block ×3, first 2 shown]
	v_mov_b32_e32 v5, s44
	v_cndmask_b32_e64 v14, 0, 1, s[30:31]
	v_or_b32_e32 v23, 0x80, v22
	v_or_b32_e32 v24, 0x100, v22
	;; [unrolled: 1-line block ×3, first 2 shown]
	s_and_b64 s[40:41], vcc, s[4:5]
	s_mul_i32 s50, s13, s13
	v_mov_b32_e32 v15, 0
	v_mov_b32_e32 v6, s45
	;; [unrolled: 1-line block ×5, first 2 shown]
	v_cmp_ne_u32_e64 s[4:5], 1, v14
	s_branch .LBB31_10
.LBB31_7:                               ;   in Loop: Header=BB31_10 Depth=1
	ds_read2_b64 v[16:19], v17 offset1:1
	v_lshlrev_b64 v[20:21], 4, v[14:15]
	v_mov_b32_e32 v14, s11
	v_add_co_u32_e32 v20, vcc, s10, v20
	v_addc_co_u32_e32 v21, vcc, v14, v21, vcc
	s_waitcnt lgkmcnt(0)
	global_store_dwordx4 v[20:21], v[16:19], off
.LBB31_8:                               ;   in Loop: Header=BB31_10 Depth=1
	s_or_b64 exec, exec, s[42:43]
.LBB31_9:                               ;   in Loop: Header=BB31_10 Depth=1
	s_waitcnt vmcnt(0)
	s_barrier
	ds_read_b32 v14, v15 offset:16384
	s_mov_b32 s29, s48
	s_waitcnt lgkmcnt(0)
	s_barrier
	v_readfirstlane_b32 s15, v14
	s_add_i32 s28, s15, s28
	s_cmp_lt_i32 s48, s12
	s_cbranch_scc0 .LBB31_96
.LBB31_10:                              ; =>This Loop Header: Depth=1
                                        ;     Child Loop BB31_12 Depth 2
                                        ;     Child Loop BB31_43 Depth 2
	s_cmp_ge_i32 s14, s23
	ds_write_b32 v15, v15 offset:16384
	ds_write_b128 v22, v[5:8]
	ds_write_b128 v22, v[5:8] offset:128
	ds_write_b128 v22, v[5:8] offset:256
	ds_write_b128 v22, v[5:8] offset:384
	s_waitcnt vmcnt(0) lgkmcnt(0)
	s_barrier
	s_cbranch_scc1 .LBB31_40
; %bb.11:                               ;   in Loop: Header=BB31_10 Depth=1
	s_mul_i32 s15, s13, s14
	v_add_u32_e32 v14, s15, v13
	v_mad_u64_u32 v[16:17], s[42:43], s13, v14, v[0:1]
	v_add_u32_e32 v14, s15, v27
	v_mad_u64_u32 v[17:18], s[42:43], s13, v14, v[0:1]
	v_add_u32_e32 v14, s15, v29
	v_mad_u64_u32 v[18:19], s[42:43], s13, v14, v[0:1]
	v_add_u32_e32 v14, s15, v31
	v_mad_u64_u32 v[19:20], s[42:43], s13, v14, v[0:1]
	v_add_u32_e32 v14, s15, v0
	v_mad_u64_u32 v[20:21], s[42:43], s13, v14, v[13:14]
	s_ashr_i32 s15, s14, 31
	s_lshl_b64 s[42:43], s[14:15], 2
	s_add_u32 s42, s18, s42
	s_addc_u32 s43, s19, s43
	s_mov_b32 s27, 0
	s_mov_b32 s51, s12
.LBB31_12:                              ;   Parent Loop BB31_10 Depth=1
                                        ; =>  This Inner Loop Header: Depth=2
	global_load_dword v14, v15, s[42:43]
	s_mov_b64 s[46:47], -1
	s_waitcnt vmcnt(0)
	v_readfirstlane_b32 s15, v14
	s_sub_i32 s48, s15, s20
	s_cmp_eq_u32 s48, s29
	s_cselect_b64 s[44:45], -1, 0
	s_cmp_lg_u32 s48, s29
                                        ; implicit-def: $sgpr15
	s_cbranch_scc1 .LBB31_16
; %bb.13:                               ;   in Loop: Header=BB31_12 Depth=2
	s_andn2_b64 vcc, exec, s[46:47]
	s_cbranch_vccz .LBB31_17
.LBB31_14:                              ;   in Loop: Header=BB31_12 Depth=2
	s_andn2_b64 vcc, exec, s[44:45]
	s_mov_b64 s[44:45], -1
	s_cbranch_vccnz .LBB31_34
.LBB31_15:                              ;   in Loop: Header=BB31_12 Depth=2
	s_add_i32 s14, s14, 1
	s_add_i32 s27, s27, s50
	s_add_u32 s42, s42, 4
	s_addc_u32 s43, s43, 0
	s_cmp_ge_i32 s14, s23
	s_cselect_b64 s[44:45], -1, 0
	s_andn2_b64 vcc, exec, s[44:45]
	s_cbranch_vccnz .LBB31_35
	s_branch .LBB31_41
.LBB31_16:                              ;   in Loop: Header=BB31_12 Depth=2
	s_min_i32 s15, s48, s51
	s_cbranch_execnz .LBB31_14
.LBB31_17:                              ;   in Loop: Header=BB31_12 Depth=2
	ds_write_b32 v15, v33 offset:16384
	s_and_saveexec_b64 s[46:47], s[34:35]
	s_cbranch_execz .LBB31_21
; %bb.18:                               ;   in Loop: Header=BB31_12 Depth=2
	s_and_b64 vcc, exec, s[30:31]
	s_cbranch_vccz .LBB31_36
; %bb.19:                               ;   in Loop: Header=BB31_12 Depth=2
	v_add_u32_e32 v14, s27, v16
	v_lshlrev_b64 v[34:35], 4, v[14:15]
	v_mov_b32_e32 v14, s25
	v_add_co_u32_e32 v34, vcc, s24, v34
	v_addc_co_u32_e32 v35, vcc, v14, v35, vcc
	global_load_dwordx4 v[34:37], v[34:35], off
	s_waitcnt vmcnt(0)
	v_mul_f64 v[38:39], v[36:37], -v[11:12]
	v_mul_f64 v[40:41], v[9:10], v[36:37]
	v_fma_f64 v[36:37], v[9:10], v[34:35], v[38:39]
	v_fma_f64 v[38:39], v[11:12], v[34:35], v[40:41]
	ds_write_b128 v26, v[36:39]
	s_cbranch_execnz .LBB31_21
.LBB31_20:                              ;   in Loop: Header=BB31_12 Depth=2
	v_add_u32_e32 v14, s27, v20
	v_lshlrev_b64 v[34:35], 4, v[14:15]
	v_mov_b32_e32 v14, s25
	v_add_co_u32_e32 v34, vcc, s24, v34
	v_addc_co_u32_e32 v35, vcc, v14, v35, vcc
	global_load_dwordx4 v[34:37], v[34:35], off
	s_waitcnt vmcnt(0)
	v_mul_f64 v[38:39], v[36:37], -v[11:12]
	v_mul_f64 v[40:41], v[9:10], v[36:37]
	v_fma_f64 v[36:37], v[9:10], v[34:35], v[38:39]
	v_fma_f64 v[38:39], v[11:12], v[34:35], v[40:41]
	ds_write_b128 v22, v[36:39]
.LBB31_21:                              ;   in Loop: Header=BB31_12 Depth=2
	s_or_b64 exec, exec, s[46:47]
	s_and_saveexec_b64 s[46:47], s[36:37]
	s_cbranch_execz .LBB31_25
; %bb.22:                               ;   in Loop: Header=BB31_12 Depth=2
	s_and_b64 vcc, exec, s[4:5]
	s_cbranch_vccnz .LBB31_37
; %bb.23:                               ;   in Loop: Header=BB31_12 Depth=2
	v_add_u32_e32 v14, s27, v17
	v_lshlrev_b64 v[34:35], 4, v[14:15]
	v_mov_b32_e32 v14, s25
	v_add_co_u32_e32 v34, vcc, s24, v34
	v_addc_co_u32_e32 v35, vcc, v14, v35, vcc
	global_load_dwordx4 v[34:37], v[34:35], off
	s_waitcnt vmcnt(0)
	v_mul_f64 v[38:39], v[36:37], -v[11:12]
	v_mul_f64 v[40:41], v[9:10], v[36:37]
	v_fma_f64 v[36:37], v[9:10], v[34:35], v[38:39]
	v_fma_f64 v[38:39], v[11:12], v[34:35], v[40:41]
	ds_write_b128 v28, v[36:39]
	s_cbranch_execnz .LBB31_25
.LBB31_24:                              ;   in Loop: Header=BB31_12 Depth=2
	v_add3_u32 v14, v20, s27, 8
	v_lshlrev_b64 v[34:35], 4, v[14:15]
	v_mov_b32_e32 v14, s25
	v_add_co_u32_e32 v34, vcc, s24, v34
	v_addc_co_u32_e32 v35, vcc, v14, v35, vcc
	global_load_dwordx4 v[34:37], v[34:35], off
	s_waitcnt vmcnt(0)
	v_mul_f64 v[38:39], v[36:37], -v[11:12]
	v_mul_f64 v[40:41], v[9:10], v[36:37]
	v_fma_f64 v[36:37], v[9:10], v[34:35], v[38:39]
	v_fma_f64 v[38:39], v[11:12], v[34:35], v[40:41]
	ds_write_b128 v22, v[36:39] offset:128
.LBB31_25:                              ;   in Loop: Header=BB31_12 Depth=2
	s_or_b64 exec, exec, s[46:47]
	s_and_saveexec_b64 s[46:47], s[38:39]
	s_cbranch_execz .LBB31_29
; %bb.26:                               ;   in Loop: Header=BB31_12 Depth=2
	s_and_b64 vcc, exec, s[4:5]
	s_cbranch_vccnz .LBB31_38
; %bb.27:                               ;   in Loop: Header=BB31_12 Depth=2
	v_add_u32_e32 v14, s27, v18
	v_lshlrev_b64 v[34:35], 4, v[14:15]
	v_mov_b32_e32 v14, s25
	v_add_co_u32_e32 v34, vcc, s24, v34
	v_addc_co_u32_e32 v35, vcc, v14, v35, vcc
	global_load_dwordx4 v[34:37], v[34:35], off
	s_waitcnt vmcnt(0)
	v_mul_f64 v[38:39], v[36:37], -v[11:12]
	v_mul_f64 v[40:41], v[9:10], v[36:37]
	v_fma_f64 v[36:37], v[9:10], v[34:35], v[38:39]
	v_fma_f64 v[38:39], v[11:12], v[34:35], v[40:41]
	ds_write_b128 v30, v[36:39]
	s_cbranch_execnz .LBB31_29
.LBB31_28:                              ;   in Loop: Header=BB31_12 Depth=2
	v_add3_u32 v14, v20, s27, 16
	v_lshlrev_b64 v[34:35], 4, v[14:15]
	v_mov_b32_e32 v14, s25
	v_add_co_u32_e32 v34, vcc, s24, v34
	v_addc_co_u32_e32 v35, vcc, v14, v35, vcc
	global_load_dwordx4 v[34:37], v[34:35], off
	s_waitcnt vmcnt(0)
	v_mul_f64 v[38:39], v[36:37], -v[11:12]
	v_mul_f64 v[40:41], v[9:10], v[36:37]
	v_fma_f64 v[36:37], v[9:10], v[34:35], v[38:39]
	v_fma_f64 v[38:39], v[11:12], v[34:35], v[40:41]
	ds_write_b128 v22, v[36:39] offset:256
.LBB31_29:                              ;   in Loop: Header=BB31_12 Depth=2
	s_or_b64 exec, exec, s[46:47]
	s_and_saveexec_b64 s[46:47], s[40:41]
	s_cbranch_execz .LBB31_33
; %bb.30:                               ;   in Loop: Header=BB31_12 Depth=2
	s_and_b64 vcc, exec, s[4:5]
	s_cbranch_vccnz .LBB31_39
; %bb.31:                               ;   in Loop: Header=BB31_12 Depth=2
	v_add_u32_e32 v14, s27, v19
	v_lshlrev_b64 v[34:35], 4, v[14:15]
	v_mov_b32_e32 v14, s25
	v_add_co_u32_e32 v34, vcc, s24, v34
	v_addc_co_u32_e32 v35, vcc, v14, v35, vcc
	global_load_dwordx4 v[34:37], v[34:35], off
	s_waitcnt vmcnt(0)
	v_mul_f64 v[38:39], v[36:37], -v[11:12]
	v_mul_f64 v[40:41], v[9:10], v[36:37]
	v_fma_f64 v[36:37], v[9:10], v[34:35], v[38:39]
	v_fma_f64 v[38:39], v[11:12], v[34:35], v[40:41]
	ds_write_b128 v32, v[36:39]
	s_cbranch_execnz .LBB31_33
.LBB31_32:                              ;   in Loop: Header=BB31_12 Depth=2
	v_add3_u32 v14, v20, s27, 24
	v_lshlrev_b64 v[34:35], 4, v[14:15]
	v_mov_b32_e32 v14, s25
	v_add_co_u32_e32 v34, vcc, s24, v34
	v_addc_co_u32_e32 v35, vcc, v14, v35, vcc
	global_load_dwordx4 v[34:37], v[34:35], off
	s_waitcnt vmcnt(0)
	v_mul_f64 v[38:39], v[36:37], -v[11:12]
	v_mul_f64 v[40:41], v[9:10], v[36:37]
	v_fma_f64 v[36:37], v[9:10], v[34:35], v[38:39]
	v_fma_f64 v[38:39], v[11:12], v[34:35], v[40:41]
	ds_write_b128 v22, v[36:39] offset:384
.LBB31_33:                              ;   in Loop: Header=BB31_12 Depth=2
	s_or_b64 exec, exec, s[46:47]
	s_mov_b32 s15, s51
	s_andn2_b64 vcc, exec, s[44:45]
	s_mov_b64 s[44:45], -1
	s_cbranch_vccz .LBB31_15
.LBB31_34:                              ;   in Loop: Header=BB31_12 Depth=2
                                        ; implicit-def: $sgpr27
                                        ; implicit-def: $sgpr42_sgpr43
	s_andn2_b64 vcc, exec, s[44:45]
	s_cbranch_vccz .LBB31_41
.LBB31_35:                              ;   in Loop: Header=BB31_12 Depth=2
	s_mov_b32 s51, s15
	s_branch .LBB31_12
.LBB31_36:                              ;   in Loop: Header=BB31_12 Depth=2
	s_branch .LBB31_20
.LBB31_37:                              ;   in Loop: Header=BB31_12 Depth=2
	s_branch .LBB31_24
.LBB31_38:                              ;   in Loop: Header=BB31_12 Depth=2
	s_branch .LBB31_28
.LBB31_39:                              ;   in Loop: Header=BB31_12 Depth=2
	s_branch .LBB31_32
.LBB31_40:                              ;   in Loop: Header=BB31_10 Depth=1
	s_mov_b32 s15, s12
.LBB31_41:                              ;   in Loop: Header=BB31_10 Depth=1
	s_cmp_ge_i32 s26, s33
	s_waitcnt lgkmcnt(0)
	s_barrier
	s_cbranch_scc1 .LBB31_71
; %bb.42:                               ;   in Loop: Header=BB31_10 Depth=1
	s_mul_i32 s27, s13, s26
	v_add_u32_e32 v14, s27, v13
	v_mad_u64_u32 v[16:17], s[42:43], s13, v14, v[0:1]
	v_add_u32_e32 v14, s27, v27
	v_mad_u64_u32 v[17:18], s[42:43], s13, v14, v[0:1]
	;; [unrolled: 2-line block ×5, first 2 shown]
	s_ashr_i32 s27, s26, 31
	s_lshl_b64 s[42:43], s[26:27], 2
	s_add_u32 s42, s6, s42
	s_addc_u32 s43, s7, s43
	s_mov_b32 s27, 0
.LBB31_43:                              ;   Parent Loop BB31_10 Depth=1
                                        ; =>  This Inner Loop Header: Depth=2
	global_load_dword v14, v15, s[42:43]
	s_mov_b64 s[46:47], -1
                                        ; implicit-def: $sgpr48
	s_waitcnt vmcnt(0)
	v_readfirstlane_b32 s44, v14
	s_sub_i32 s49, s44, s21
	s_cmp_eq_u32 s49, s29
	s_cselect_b64 s[44:45], -1, 0
	s_cmp_lg_u32 s49, s29
	s_cbranch_scc1 .LBB31_47
; %bb.44:                               ;   in Loop: Header=BB31_43 Depth=2
	s_andn2_b64 vcc, exec, s[46:47]
	s_cbranch_vccz .LBB31_48
.LBB31_45:                              ;   in Loop: Header=BB31_43 Depth=2
	s_andn2_b64 vcc, exec, s[44:45]
	s_mov_b64 s[44:45], -1
	s_cbranch_vccnz .LBB31_65
.LBB31_46:                              ;   in Loop: Header=BB31_43 Depth=2
	s_add_i32 s26, s26, 1
	s_add_i32 s27, s27, s50
	s_add_u32 s42, s42, 4
	s_addc_u32 s43, s43, 0
	s_cmp_ge_i32 s26, s33
	s_cselect_b64 s[44:45], -1, 0
	s_andn2_b64 vcc, exec, s[44:45]
	s_cbranch_vccnz .LBB31_66
	s_branch .LBB31_72
.LBB31_47:                              ;   in Loop: Header=BB31_43 Depth=2
	s_min_i32 s48, s49, s15
	s_cbranch_execnz .LBB31_45
.LBB31_48:                              ;   in Loop: Header=BB31_43 Depth=2
	ds_write_b32 v15, v33 offset:16384
	s_and_saveexec_b64 s[46:47], s[34:35]
	s_cbranch_execz .LBB31_52
; %bb.49:                               ;   in Loop: Header=BB31_43 Depth=2
	s_and_b64 vcc, exec, s[30:31]
	s_cbranch_vccz .LBB31_67
; %bb.50:                               ;   in Loop: Header=BB31_43 Depth=2
	v_add_u32_e32 v14, s27, v16
	v_lshlrev_b64 v[34:35], 4, v[14:15]
	v_mov_b32_e32 v14, s17
	v_add_co_u32_e32 v34, vcc, s16, v34
	v_addc_co_u32_e32 v35, vcc, v14, v35, vcc
	global_load_dwordx4 v[34:37], v[34:35], off
	ds_read_b128 v[38:41], v26
	s_waitcnt vmcnt(0) lgkmcnt(0)
	v_fma_f64 v[38:39], v[1:2], v[34:35], v[38:39]
	v_fma_f64 v[40:41], v[3:4], v[34:35], v[40:41]
	v_fma_f64 v[34:35], -v[3:4], v[36:37], v[38:39]
	v_fma_f64 v[36:37], v[1:2], v[36:37], v[40:41]
	ds_write_b128 v26, v[34:37]
	s_cbranch_execnz .LBB31_52
.LBB31_51:                              ;   in Loop: Header=BB31_43 Depth=2
	v_add_u32_e32 v14, s27, v20
	v_lshlrev_b64 v[34:35], 4, v[14:15]
	v_mov_b32_e32 v14, s17
	v_add_co_u32_e32 v34, vcc, s16, v34
	v_addc_co_u32_e32 v35, vcc, v14, v35, vcc
	global_load_dwordx4 v[34:37], v[34:35], off
	ds_read_b128 v[38:41], v22
	s_waitcnt vmcnt(0) lgkmcnt(0)
	v_fma_f64 v[38:39], v[1:2], v[34:35], v[38:39]
	v_fma_f64 v[40:41], v[3:4], v[34:35], v[40:41]
	v_fma_f64 v[34:35], -v[3:4], v[36:37], v[38:39]
	v_fma_f64 v[36:37], v[1:2], v[36:37], v[40:41]
	ds_write_b128 v22, v[34:37]
.LBB31_52:                              ;   in Loop: Header=BB31_43 Depth=2
	s_or_b64 exec, exec, s[46:47]
	s_and_saveexec_b64 s[46:47], s[36:37]
	s_cbranch_execz .LBB31_56
; %bb.53:                               ;   in Loop: Header=BB31_43 Depth=2
	s_and_b64 vcc, exec, s[4:5]
	s_cbranch_vccnz .LBB31_68
; %bb.54:                               ;   in Loop: Header=BB31_43 Depth=2
	v_add_u32_e32 v14, s27, v17
	v_lshlrev_b64 v[34:35], 4, v[14:15]
	v_mov_b32_e32 v14, s17
	v_add_co_u32_e32 v34, vcc, s16, v34
	v_addc_co_u32_e32 v35, vcc, v14, v35, vcc
	global_load_dwordx4 v[34:37], v[34:35], off
	ds_read_b128 v[38:41], v28
	s_waitcnt vmcnt(0) lgkmcnt(0)
	v_fma_f64 v[38:39], v[1:2], v[34:35], v[38:39]
	v_fma_f64 v[40:41], v[3:4], v[34:35], v[40:41]
	v_fma_f64 v[34:35], -v[3:4], v[36:37], v[38:39]
	v_fma_f64 v[36:37], v[1:2], v[36:37], v[40:41]
	ds_write_b128 v28, v[34:37]
	s_cbranch_execnz .LBB31_56
.LBB31_55:                              ;   in Loop: Header=BB31_43 Depth=2
	v_add3_u32 v14, v20, s27, 8
	v_lshlrev_b64 v[34:35], 4, v[14:15]
	v_mov_b32_e32 v14, s17
	v_add_co_u32_e32 v34, vcc, s16, v34
	v_addc_co_u32_e32 v35, vcc, v14, v35, vcc
	global_load_dwordx4 v[34:37], v[34:35], off
	ds_read_b128 v[38:41], v22 offset:128
	s_waitcnt vmcnt(0) lgkmcnt(0)
	v_fma_f64 v[38:39], v[1:2], v[34:35], v[38:39]
	v_fma_f64 v[40:41], v[3:4], v[34:35], v[40:41]
	v_fma_f64 v[34:35], -v[3:4], v[36:37], v[38:39]
	v_fma_f64 v[36:37], v[1:2], v[36:37], v[40:41]
	ds_write_b128 v22, v[34:37] offset:128
.LBB31_56:                              ;   in Loop: Header=BB31_43 Depth=2
	s_or_b64 exec, exec, s[46:47]
	s_and_saveexec_b64 s[46:47], s[38:39]
	s_cbranch_execz .LBB31_60
; %bb.57:                               ;   in Loop: Header=BB31_43 Depth=2
	s_and_b64 vcc, exec, s[4:5]
	s_cbranch_vccnz .LBB31_69
; %bb.58:                               ;   in Loop: Header=BB31_43 Depth=2
	v_add_u32_e32 v14, s27, v18
	v_lshlrev_b64 v[34:35], 4, v[14:15]
	v_mov_b32_e32 v14, s17
	v_add_co_u32_e32 v34, vcc, s16, v34
	v_addc_co_u32_e32 v35, vcc, v14, v35, vcc
	global_load_dwordx4 v[34:37], v[34:35], off
	ds_read_b128 v[38:41], v30
	s_waitcnt vmcnt(0) lgkmcnt(0)
	v_fma_f64 v[38:39], v[1:2], v[34:35], v[38:39]
	v_fma_f64 v[40:41], v[3:4], v[34:35], v[40:41]
	v_fma_f64 v[34:35], -v[3:4], v[36:37], v[38:39]
	v_fma_f64 v[36:37], v[1:2], v[36:37], v[40:41]
	ds_write_b128 v30, v[34:37]
	s_cbranch_execnz .LBB31_60
.LBB31_59:                              ;   in Loop: Header=BB31_43 Depth=2
	v_add3_u32 v14, v20, s27, 16
	v_lshlrev_b64 v[34:35], 4, v[14:15]
	v_mov_b32_e32 v14, s17
	v_add_co_u32_e32 v34, vcc, s16, v34
	v_addc_co_u32_e32 v35, vcc, v14, v35, vcc
	global_load_dwordx4 v[34:37], v[34:35], off
	ds_read_b128 v[38:41], v22 offset:256
	s_waitcnt vmcnt(0) lgkmcnt(0)
	v_fma_f64 v[38:39], v[1:2], v[34:35], v[38:39]
	v_fma_f64 v[40:41], v[3:4], v[34:35], v[40:41]
	v_fma_f64 v[34:35], -v[3:4], v[36:37], v[38:39]
	v_fma_f64 v[36:37], v[1:2], v[36:37], v[40:41]
	ds_write_b128 v22, v[34:37] offset:256
.LBB31_60:                              ;   in Loop: Header=BB31_43 Depth=2
	s_or_b64 exec, exec, s[46:47]
	s_and_saveexec_b64 s[46:47], s[40:41]
	s_cbranch_execz .LBB31_64
; %bb.61:                               ;   in Loop: Header=BB31_43 Depth=2
	s_and_b64 vcc, exec, s[4:5]
	s_cbranch_vccnz .LBB31_70
; %bb.62:                               ;   in Loop: Header=BB31_43 Depth=2
	v_add_u32_e32 v14, s27, v19
	v_lshlrev_b64 v[34:35], 4, v[14:15]
	v_mov_b32_e32 v14, s17
	v_add_co_u32_e32 v34, vcc, s16, v34
	v_addc_co_u32_e32 v35, vcc, v14, v35, vcc
	global_load_dwordx4 v[34:37], v[34:35], off
	ds_read_b128 v[38:41], v32
	s_waitcnt vmcnt(0) lgkmcnt(0)
	v_fma_f64 v[38:39], v[1:2], v[34:35], v[38:39]
	v_fma_f64 v[40:41], v[3:4], v[34:35], v[40:41]
	v_fma_f64 v[34:35], -v[3:4], v[36:37], v[38:39]
	v_fma_f64 v[36:37], v[1:2], v[36:37], v[40:41]
	ds_write_b128 v32, v[34:37]
	s_cbranch_execnz .LBB31_64
.LBB31_63:                              ;   in Loop: Header=BB31_43 Depth=2
	v_add3_u32 v14, v20, s27, 24
	v_lshlrev_b64 v[34:35], 4, v[14:15]
	v_mov_b32_e32 v14, s17
	v_add_co_u32_e32 v34, vcc, s16, v34
	v_addc_co_u32_e32 v35, vcc, v14, v35, vcc
	global_load_dwordx4 v[34:37], v[34:35], off
	ds_read_b128 v[38:41], v22 offset:384
	s_waitcnt vmcnt(0) lgkmcnt(0)
	v_fma_f64 v[38:39], v[1:2], v[34:35], v[38:39]
	v_fma_f64 v[40:41], v[3:4], v[34:35], v[40:41]
	v_fma_f64 v[34:35], -v[3:4], v[36:37], v[38:39]
	v_fma_f64 v[36:37], v[1:2], v[36:37], v[40:41]
	ds_write_b128 v22, v[34:37] offset:384
.LBB31_64:                              ;   in Loop: Header=BB31_43 Depth=2
	s_or_b64 exec, exec, s[46:47]
	s_mov_b32 s48, s15
	s_andn2_b64 vcc, exec, s[44:45]
	s_mov_b64 s[44:45], -1
	s_cbranch_vccz .LBB31_46
.LBB31_65:                              ;   in Loop: Header=BB31_43 Depth=2
                                        ; implicit-def: $sgpr27
                                        ; implicit-def: $sgpr42_sgpr43
	s_andn2_b64 vcc, exec, s[44:45]
	s_cbranch_vccz .LBB31_72
.LBB31_66:                              ;   in Loop: Header=BB31_43 Depth=2
	s_mov_b32 s15, s48
	s_branch .LBB31_43
.LBB31_67:                              ;   in Loop: Header=BB31_43 Depth=2
	s_branch .LBB31_51
.LBB31_68:                              ;   in Loop: Header=BB31_43 Depth=2
	s_branch .LBB31_55
.LBB31_69:                              ;   in Loop: Header=BB31_43 Depth=2
	s_branch .LBB31_59
.LBB31_70:                              ;   in Loop: Header=BB31_43 Depth=2
	s_branch .LBB31_63
.LBB31_71:                              ;   in Loop: Header=BB31_10 Depth=1
	s_mov_b32 s48, s15
.LBB31_72:                              ;   in Loop: Header=BB31_10 Depth=1
	s_waitcnt lgkmcnt(0)
	s_barrier
	ds_read_b32 v14, v15 offset:16384
	s_waitcnt lgkmcnt(0)
	v_cmp_eq_u32_e32 vcc, 0, v14
	s_cbranch_vccnz .LBB31_9
; %bb.73:                               ;   in Loop: Header=BB31_10 Depth=1
	s_mul_i32 s15, s28, s13
	v_add_u32_e32 v14, s15, v0
	s_add_i32 s27, s29, s22
	s_ashr_i32 s29, s28, 31
	v_mul_lo_u32 v16, v14, s13
	s_lshl_b64 s[42:43], s[28:29], 2
	s_add_u32 s42, s8, s42
	s_addc_u32 s43, s9, s43
	v_mov_b32_e32 v14, s27
	global_store_dword v15, v14, s[42:43]
	s_and_saveexec_b64 s[42:43], s[34:35]
	s_cbranch_execnz .LBB31_77
; %bb.74:                               ;   in Loop: Header=BB31_10 Depth=1
	s_or_b64 exec, exec, s[42:43]
	s_and_saveexec_b64 s[42:43], s[36:37]
	s_cbranch_execnz .LBB31_81
.LBB31_75:                              ;   in Loop: Header=BB31_10 Depth=1
	s_or_b64 exec, exec, s[42:43]
	s_and_saveexec_b64 s[42:43], s[38:39]
	s_cbranch_execnz .LBB31_85
.LBB31_76:                              ;   in Loop: Header=BB31_10 Depth=1
	s_or_b64 exec, exec, s[42:43]
	s_and_saveexec_b64 s[42:43], s[40:41]
	s_cbranch_execz .LBB31_8
	s_branch .LBB31_89
.LBB31_77:                              ;   in Loop: Header=BB31_10 Depth=1
	s_and_b64 vcc, exec, s[30:31]
	s_cbranch_vccz .LBB31_91
; %bb.78:                               ;   in Loop: Header=BB31_10 Depth=1
	v_add_u32_e32 v14, s15, v13
	v_mad_u64_u32 v[17:18], s[44:45], v14, s13, v[0:1]
	v_mov_b32_e32 v14, v17
	v_mov_b32_e32 v17, v26
	s_cbranch_execnz .LBB31_80
.LBB31_79:                              ;   in Loop: Header=BB31_10 Depth=1
	v_add_u32_e32 v14, v16, v13
	v_mov_b32_e32 v17, v22
.LBB31_80:                              ;   in Loop: Header=BB31_10 Depth=1
	ds_read2_b64 v[17:20], v17 offset1:1
	v_lshlrev_b64 v[34:35], 4, v[14:15]
	v_mov_b32_e32 v14, s11
	v_add_co_u32_e32 v34, vcc, s10, v34
	v_addc_co_u32_e32 v35, vcc, v14, v35, vcc
	s_waitcnt lgkmcnt(0)
	global_store_dwordx4 v[34:35], v[17:20], off
	s_or_b64 exec, exec, s[42:43]
	s_and_saveexec_b64 s[42:43], s[36:37]
	s_cbranch_execz .LBB31_75
.LBB31_81:                              ;   in Loop: Header=BB31_10 Depth=1
	s_and_b64 vcc, exec, s[4:5]
	s_cbranch_vccnz .LBB31_92
; %bb.82:                               ;   in Loop: Header=BB31_10 Depth=1
	v_add_u32_e32 v14, s15, v27
	v_mad_u64_u32 v[17:18], s[44:45], v14, s13, v[0:1]
	v_mov_b32_e32 v14, v17
	v_mov_b32_e32 v17, v28
	s_cbranch_execnz .LBB31_84
.LBB31_83:                              ;   in Loop: Header=BB31_10 Depth=1
	v_add_u32_e32 v14, v16, v27
	v_mov_b32_e32 v17, v23
.LBB31_84:                              ;   in Loop: Header=BB31_10 Depth=1
	ds_read2_b64 v[17:20], v17 offset1:1
	v_lshlrev_b64 v[34:35], 4, v[14:15]
	v_mov_b32_e32 v14, s11
	v_add_co_u32_e32 v34, vcc, s10, v34
	v_addc_co_u32_e32 v35, vcc, v14, v35, vcc
	s_waitcnt lgkmcnt(0)
	global_store_dwordx4 v[34:35], v[17:20], off
	s_or_b64 exec, exec, s[42:43]
	s_and_saveexec_b64 s[42:43], s[38:39]
	s_cbranch_execz .LBB31_76
.LBB31_85:                              ;   in Loop: Header=BB31_10 Depth=1
	s_and_b64 vcc, exec, s[4:5]
	s_cbranch_vccnz .LBB31_93
; %bb.86:                               ;   in Loop: Header=BB31_10 Depth=1
	v_add_u32_e32 v14, s15, v29
	v_mad_u64_u32 v[17:18], s[44:45], v14, s13, v[0:1]
	v_mov_b32_e32 v14, v17
	v_mov_b32_e32 v17, v30
	s_cbranch_execnz .LBB31_88
.LBB31_87:                              ;   in Loop: Header=BB31_10 Depth=1
	v_add_u32_e32 v14, v16, v29
	v_mov_b32_e32 v17, v24
.LBB31_88:                              ;   in Loop: Header=BB31_10 Depth=1
	ds_read2_b64 v[17:20], v17 offset1:1
	v_lshlrev_b64 v[34:35], 4, v[14:15]
	v_mov_b32_e32 v14, s11
	v_add_co_u32_e32 v34, vcc, s10, v34
	v_addc_co_u32_e32 v35, vcc, v14, v35, vcc
	s_waitcnt lgkmcnt(0)
	global_store_dwordx4 v[34:35], v[17:20], off
	s_or_b64 exec, exec, s[42:43]
	s_and_saveexec_b64 s[42:43], s[40:41]
	s_cbranch_execz .LBB31_8
.LBB31_89:                              ;   in Loop: Header=BB31_10 Depth=1
	s_and_b64 vcc, exec, s[4:5]
	s_cbranch_vccnz .LBB31_94
; %bb.90:                               ;   in Loop: Header=BB31_10 Depth=1
	v_add_u32_e32 v14, s15, v31
	v_mad_u64_u32 v[17:18], s[44:45], v14, s13, v[0:1]
	v_mov_b32_e32 v14, v17
	v_mov_b32_e32 v17, v32
	s_cbranch_execnz .LBB31_7
	s_branch .LBB31_95
.LBB31_91:                              ;   in Loop: Header=BB31_10 Depth=1
	v_mov_b32_e32 v17, v26
	s_branch .LBB31_79
.LBB31_92:                              ;   in Loop: Header=BB31_10 Depth=1
	v_mov_b32_e32 v17, v28
	s_branch .LBB31_83
.LBB31_93:                              ;   in Loop: Header=BB31_10 Depth=1
	v_mov_b32_e32 v17, v30
	s_branch .LBB31_87
.LBB31_94:                              ;   in Loop: Header=BB31_10 Depth=1
	v_mov_b32_e32 v17, v32
.LBB31_95:                              ;   in Loop: Header=BB31_10 Depth=1
	v_add_u32_e32 v14, v16, v31
	v_mov_b32_e32 v17, v25
	s_branch .LBB31_7
.LBB31_96:
	s_endpgm
	.section	.rodata,"a",@progbits
	.p2align	6, 0x0
	.amdhsa_kernel _ZN9rocsparseL39bsrgeam_block_per_row_multipass_kernel2ILj256ELj32E21rocsparse_complex_numIdEEEv20rocsparse_direction_iiiNS_24const_host_device_scalarIT1_EEPKiS8_PKS5_S6_S8_S8_SA_S8_PiPS5_21rocsparse_index_base_SD_SD_b
		.amdhsa_group_segment_fixed_size 16392
		.amdhsa_private_segment_fixed_size 16
		.amdhsa_kernarg_size 136
		.amdhsa_user_sgpr_count 8
		.amdhsa_user_sgpr_private_segment_buffer 1
		.amdhsa_user_sgpr_dispatch_ptr 0
		.amdhsa_user_sgpr_queue_ptr 0
		.amdhsa_user_sgpr_kernarg_segment_ptr 1
		.amdhsa_user_sgpr_dispatch_id 0
		.amdhsa_user_sgpr_flat_scratch_init 1
		.amdhsa_user_sgpr_private_segment_size 0
		.amdhsa_uses_dynamic_stack 0
		.amdhsa_system_sgpr_private_segment_wavefront_offset 1
		.amdhsa_system_sgpr_workgroup_id_x 1
		.amdhsa_system_sgpr_workgroup_id_y 0
		.amdhsa_system_sgpr_workgroup_id_z 0
		.amdhsa_system_sgpr_workgroup_info 0
		.amdhsa_system_vgpr_workitem_id 0
		.amdhsa_next_free_vgpr 65
		.amdhsa_next_free_sgpr 96
		.amdhsa_reserve_vcc 1
		.amdhsa_reserve_flat_scratch 1
		.amdhsa_float_round_mode_32 0
		.amdhsa_float_round_mode_16_64 0
		.amdhsa_float_denorm_mode_32 3
		.amdhsa_float_denorm_mode_16_64 3
		.amdhsa_dx10_clamp 1
		.amdhsa_ieee_mode 1
		.amdhsa_fp16_overflow 0
		.amdhsa_exception_fp_ieee_invalid_op 0
		.amdhsa_exception_fp_denorm_src 0
		.amdhsa_exception_fp_ieee_div_zero 0
		.amdhsa_exception_fp_ieee_overflow 0
		.amdhsa_exception_fp_ieee_underflow 0
		.amdhsa_exception_fp_ieee_inexact 0
		.amdhsa_exception_int_div_zero 0
	.end_amdhsa_kernel
	.section	.text._ZN9rocsparseL39bsrgeam_block_per_row_multipass_kernel2ILj256ELj32E21rocsparse_complex_numIdEEEv20rocsparse_direction_iiiNS_24const_host_device_scalarIT1_EEPKiS8_PKS5_S6_S8_S8_SA_S8_PiPS5_21rocsparse_index_base_SD_SD_b,"axG",@progbits,_ZN9rocsparseL39bsrgeam_block_per_row_multipass_kernel2ILj256ELj32E21rocsparse_complex_numIdEEEv20rocsparse_direction_iiiNS_24const_host_device_scalarIT1_EEPKiS8_PKS5_S6_S8_S8_SA_S8_PiPS5_21rocsparse_index_base_SD_SD_b,comdat
.Lfunc_end31:
	.size	_ZN9rocsparseL39bsrgeam_block_per_row_multipass_kernel2ILj256ELj32E21rocsparse_complex_numIdEEEv20rocsparse_direction_iiiNS_24const_host_device_scalarIT1_EEPKiS8_PKS5_S6_S8_S8_SA_S8_PiPS5_21rocsparse_index_base_SD_SD_b, .Lfunc_end31-_ZN9rocsparseL39bsrgeam_block_per_row_multipass_kernel2ILj256ELj32E21rocsparse_complex_numIdEEEv20rocsparse_direction_iiiNS_24const_host_device_scalarIT1_EEPKiS8_PKS5_S6_S8_S8_SA_S8_PiPS5_21rocsparse_index_base_SD_SD_b
                                        ; -- End function
	.set _ZN9rocsparseL39bsrgeam_block_per_row_multipass_kernel2ILj256ELj32E21rocsparse_complex_numIdEEEv20rocsparse_direction_iiiNS_24const_host_device_scalarIT1_EEPKiS8_PKS5_S6_S8_S8_SA_S8_PiPS5_21rocsparse_index_base_SD_SD_b.num_vgpr, 42
	.set _ZN9rocsparseL39bsrgeam_block_per_row_multipass_kernel2ILj256ELj32E21rocsparse_complex_numIdEEEv20rocsparse_direction_iiiNS_24const_host_device_scalarIT1_EEPKiS8_PKS5_S6_S8_S8_SA_S8_PiPS5_21rocsparse_index_base_SD_SD_b.num_agpr, 0
	.set _ZN9rocsparseL39bsrgeam_block_per_row_multipass_kernel2ILj256ELj32E21rocsparse_complex_numIdEEEv20rocsparse_direction_iiiNS_24const_host_device_scalarIT1_EEPKiS8_PKS5_S6_S8_S8_SA_S8_PiPS5_21rocsparse_index_base_SD_SD_b.numbered_sgpr, 52
	.set _ZN9rocsparseL39bsrgeam_block_per_row_multipass_kernel2ILj256ELj32E21rocsparse_complex_numIdEEEv20rocsparse_direction_iiiNS_24const_host_device_scalarIT1_EEPKiS8_PKS5_S6_S8_S8_SA_S8_PiPS5_21rocsparse_index_base_SD_SD_b.num_named_barrier, 0
	.set _ZN9rocsparseL39bsrgeam_block_per_row_multipass_kernel2ILj256ELj32E21rocsparse_complex_numIdEEEv20rocsparse_direction_iiiNS_24const_host_device_scalarIT1_EEPKiS8_PKS5_S6_S8_S8_SA_S8_PiPS5_21rocsparse_index_base_SD_SD_b.private_seg_size, 16
	.set _ZN9rocsparseL39bsrgeam_block_per_row_multipass_kernel2ILj256ELj32E21rocsparse_complex_numIdEEEv20rocsparse_direction_iiiNS_24const_host_device_scalarIT1_EEPKiS8_PKS5_S6_S8_S8_SA_S8_PiPS5_21rocsparse_index_base_SD_SD_b.uses_vcc, 1
	.set _ZN9rocsparseL39bsrgeam_block_per_row_multipass_kernel2ILj256ELj32E21rocsparse_complex_numIdEEEv20rocsparse_direction_iiiNS_24const_host_device_scalarIT1_EEPKiS8_PKS5_S6_S8_S8_SA_S8_PiPS5_21rocsparse_index_base_SD_SD_b.uses_flat_scratch, 1
	.set _ZN9rocsparseL39bsrgeam_block_per_row_multipass_kernel2ILj256ELj32E21rocsparse_complex_numIdEEEv20rocsparse_direction_iiiNS_24const_host_device_scalarIT1_EEPKiS8_PKS5_S6_S8_S8_SA_S8_PiPS5_21rocsparse_index_base_SD_SD_b.has_dyn_sized_stack, 0
	.set _ZN9rocsparseL39bsrgeam_block_per_row_multipass_kernel2ILj256ELj32E21rocsparse_complex_numIdEEEv20rocsparse_direction_iiiNS_24const_host_device_scalarIT1_EEPKiS8_PKS5_S6_S8_S8_SA_S8_PiPS5_21rocsparse_index_base_SD_SD_b.has_recursion, 0
	.set _ZN9rocsparseL39bsrgeam_block_per_row_multipass_kernel2ILj256ELj32E21rocsparse_complex_numIdEEEv20rocsparse_direction_iiiNS_24const_host_device_scalarIT1_EEPKiS8_PKS5_S6_S8_S8_SA_S8_PiPS5_21rocsparse_index_base_SD_SD_b.has_indirect_call, 0
	.section	.AMDGPU.csdata,"",@progbits
; Kernel info:
; codeLenInByte = 3280
; TotalNumSgprs: 58
; NumVgprs: 42
; ScratchSize: 16
; MemoryBound: 0
; FloatMode: 240
; IeeeMode: 1
; LDSByteSize: 16392 bytes/workgroup (compile time only)
; SGPRBlocks: 12
; VGPRBlocks: 16
; NumSGPRsForWavesPerEU: 102
; NumVGPRsForWavesPerEU: 65
; Occupancy: 3
; WaveLimiterHint : 1
; COMPUTE_PGM_RSRC2:SCRATCH_EN: 1
; COMPUTE_PGM_RSRC2:USER_SGPR: 8
; COMPUTE_PGM_RSRC2:TRAP_HANDLER: 0
; COMPUTE_PGM_RSRC2:TGID_X_EN: 1
; COMPUTE_PGM_RSRC2:TGID_Y_EN: 0
; COMPUTE_PGM_RSRC2:TGID_Z_EN: 0
; COMPUTE_PGM_RSRC2:TIDIG_COMP_CNT: 0
	.section	.AMDGPU.gpr_maximums,"",@progbits
	.set amdgpu.max_num_vgpr, 0
	.set amdgpu.max_num_agpr, 0
	.set amdgpu.max_num_sgpr, 0
	.section	.AMDGPU.csdata,"",@progbits
	.type	__hip_cuid_d1c0c794695ba4a,@object ; @__hip_cuid_d1c0c794695ba4a
	.section	.bss,"aw",@nobits
	.globl	__hip_cuid_d1c0c794695ba4a
__hip_cuid_d1c0c794695ba4a:
	.byte	0                               ; 0x0
	.size	__hip_cuid_d1c0c794695ba4a, 1

	.ident	"AMD clang version 22.0.0git (https://github.com/RadeonOpenCompute/llvm-project roc-7.2.4 26084 f58b06dce1f9c15707c5f808fd002e18c2accf7e)"
	.section	".note.GNU-stack","",@progbits
	.addrsig
	.addrsig_sym __hip_cuid_d1c0c794695ba4a
	.amdgpu_metadata
---
amdhsa.kernels:
  - .args:
      - .offset:         0
        .size:           4
        .value_kind:     by_value
      - .offset:         4
        .size:           4
        .value_kind:     by_value
      - .offset:         8
        .size:           4
        .value_kind:     by_value
      - .offset:         12
        .size:           4
        .value_kind:     by_value
      - .offset:         16
        .size:           8
        .value_kind:     by_value
      - .actual_access:  read_only
        .address_space:  global
        .offset:         24
        .size:           8
        .value_kind:     global_buffer
      - .actual_access:  read_only
        .address_space:  global
        .offset:         32
        .size:           8
        .value_kind:     global_buffer
      - .actual_access:  read_only
        .address_space:  global
        .offset:         40
        .size:           8
        .value_kind:     global_buffer
      - .offset:         48
        .size:           8
        .value_kind:     by_value
      - .actual_access:  read_only
        .address_space:  global
        .offset:         56
        .size:           8
        .value_kind:     global_buffer
      - .actual_access:  read_only
        .address_space:  global
        .offset:         64
        .size:           8
        .value_kind:     global_buffer
      - .actual_access:  read_only
        .address_space:  global
        .offset:         72
        .size:           8
        .value_kind:     global_buffer
      - .actual_access:  read_only
        .address_space:  global
        .offset:         80
        .size:           8
        .value_kind:     global_buffer
      - .actual_access:  write_only
        .address_space:  global
        .offset:         88
        .size:           8
        .value_kind:     global_buffer
      - .actual_access:  write_only
        .address_space:  global
        .offset:         96
        .size:           8
        .value_kind:     global_buffer
      - .offset:         104
        .size:           4
        .value_kind:     by_value
      - .offset:         108
        .size:           4
        .value_kind:     by_value
      - .offset:         112
        .size:           4
        .value_kind:     by_value
      - .offset:         116
        .size:           1
        .value_kind:     by_value
    .group_segment_fixed_size: 4352
    .kernarg_segment_align: 8
    .kernarg_segment_size: 120
    .language:       OpenCL C
    .language_version:
      - 2
      - 0
    .max_flat_workgroup_size: 256
    .name:           _ZN9rocsparseL39bsrgeam_wf_per_row_multipass_2_3_kernelILj256ELj2ELj32EfEEv20rocsparse_direction_iiiNS_24const_host_device_scalarIT2_EEPKiS6_PKS3_S4_S6_S6_S8_S6_PiPS3_21rocsparse_index_base_SB_SB_b
    .private_segment_fixed_size: 0
    .sgpr_count:     40
    .sgpr_spill_count: 0
    .symbol:         _ZN9rocsparseL39bsrgeam_wf_per_row_multipass_2_3_kernelILj256ELj2ELj32EfEEv20rocsparse_direction_iiiNS_24const_host_device_scalarIT2_EEPKiS6_PKS3_S4_S6_S6_S8_S6_PiPS3_21rocsparse_index_base_SB_SB_b.kd
    .uniform_work_group_size: 1
    .uses_dynamic_stack: false
    .vgpr_count:     36
    .vgpr_spill_count: 0
    .wavefront_size: 64
  - .args:
      - .offset:         0
        .size:           4
        .value_kind:     by_value
      - .offset:         4
        .size:           4
        .value_kind:     by_value
      - .offset:         8
        .size:           4
        .value_kind:     by_value
      - .offset:         12
        .size:           4
        .value_kind:     by_value
      - .offset:         16
        .size:           8
        .value_kind:     by_value
      - .actual_access:  read_only
        .address_space:  global
        .offset:         24
        .size:           8
        .value_kind:     global_buffer
      - .actual_access:  read_only
        .address_space:  global
        .offset:         32
        .size:           8
        .value_kind:     global_buffer
      - .actual_access:  read_only
        .address_space:  global
        .offset:         40
        .size:           8
        .value_kind:     global_buffer
      - .offset:         48
        .size:           8
        .value_kind:     by_value
      - .actual_access:  read_only
        .address_space:  global
        .offset:         56
        .size:           8
        .value_kind:     global_buffer
      - .actual_access:  read_only
        .address_space:  global
        .offset:         64
        .size:           8
        .value_kind:     global_buffer
      - .actual_access:  read_only
        .address_space:  global
        .offset:         72
        .size:           8
        .value_kind:     global_buffer
      - .actual_access:  read_only
        .address_space:  global
        .offset:         80
        .size:           8
        .value_kind:     global_buffer
      - .actual_access:  write_only
        .address_space:  global
        .offset:         88
        .size:           8
        .value_kind:     global_buffer
      - .actual_access:  write_only
        .address_space:  global
        .offset:         96
        .size:           8
        .value_kind:     global_buffer
      - .offset:         104
        .size:           4
        .value_kind:     by_value
      - .offset:         108
        .size:           4
        .value_kind:     by_value
      - .offset:         112
        .size:           4
        .value_kind:     by_value
      - .offset:         116
        .size:           1
        .value_kind:     by_value
    .group_segment_fixed_size: 4352
    .kernarg_segment_align: 8
    .kernarg_segment_size: 120
    .language:       OpenCL C
    .language_version:
      - 2
      - 0
    .max_flat_workgroup_size: 256
    .name:           _ZN9rocsparseL39bsrgeam_wf_per_row_multipass_2_3_kernelILj256ELj2ELj64EfEEv20rocsparse_direction_iiiNS_24const_host_device_scalarIT2_EEPKiS6_PKS3_S4_S6_S6_S8_S6_PiPS3_21rocsparse_index_base_SB_SB_b
    .private_segment_fixed_size: 0
    .sgpr_count:     40
    .sgpr_spill_count: 0
    .symbol:         _ZN9rocsparseL39bsrgeam_wf_per_row_multipass_2_3_kernelILj256ELj2ELj64EfEEv20rocsparse_direction_iiiNS_24const_host_device_scalarIT2_EEPKiS6_PKS3_S4_S6_S6_S8_S6_PiPS3_21rocsparse_index_base_SB_SB_b.kd
    .uniform_work_group_size: 1
    .uses_dynamic_stack: false
    .vgpr_count:     38
    .vgpr_spill_count: 0
    .wavefront_size: 64
  - .args:
      - .offset:         0
        .size:           4
        .value_kind:     by_value
      - .offset:         4
        .size:           4
        .value_kind:     by_value
      - .offset:         8
        .size:           4
        .value_kind:     by_value
      - .offset:         12
        .size:           4
        .value_kind:     by_value
      - .offset:         16
        .size:           8
        .value_kind:     by_value
      - .actual_access:  read_only
        .address_space:  global
        .offset:         24
        .size:           8
        .value_kind:     global_buffer
      - .actual_access:  read_only
        .address_space:  global
        .offset:         32
        .size:           8
        .value_kind:     global_buffer
      - .actual_access:  read_only
        .address_space:  global
        .offset:         40
        .size:           8
        .value_kind:     global_buffer
      - .offset:         48
        .size:           8
        .value_kind:     by_value
      - .actual_access:  read_only
        .address_space:  global
        .offset:         56
        .size:           8
        .value_kind:     global_buffer
      - .actual_access:  read_only
        .address_space:  global
        .offset:         64
        .size:           8
        .value_kind:     global_buffer
      - .actual_access:  read_only
        .address_space:  global
        .offset:         72
        .size:           8
        .value_kind:     global_buffer
      - .actual_access:  read_only
        .address_space:  global
        .offset:         80
        .size:           8
        .value_kind:     global_buffer
      - .actual_access:  write_only
        .address_space:  global
        .offset:         88
        .size:           8
        .value_kind:     global_buffer
      - .actual_access:  write_only
        .address_space:  global
        .offset:         96
        .size:           8
        .value_kind:     global_buffer
      - .offset:         104
        .size:           4
        .value_kind:     by_value
      - .offset:         108
        .size:           4
        .value_kind:     by_value
      - .offset:         112
        .size:           4
        .value_kind:     by_value
      - .offset:         116
        .size:           1
        .value_kind:     by_value
    .group_segment_fixed_size: 9472
    .kernarg_segment_align: 8
    .kernarg_segment_size: 120
    .language:       OpenCL C
    .language_version:
      - 2
      - 0
    .max_flat_workgroup_size: 256
    .name:           _ZN9rocsparseL39bsrgeam_wf_per_row_multipass_2_3_kernelILj256ELj3ELj32EfEEv20rocsparse_direction_iiiNS_24const_host_device_scalarIT2_EEPKiS6_PKS3_S4_S6_S6_S8_S6_PiPS3_21rocsparse_index_base_SB_SB_b
    .private_segment_fixed_size: 0
    .sgpr_count:     42
    .sgpr_spill_count: 0
    .symbol:         _ZN9rocsparseL39bsrgeam_wf_per_row_multipass_2_3_kernelILj256ELj3ELj32EfEEv20rocsparse_direction_iiiNS_24const_host_device_scalarIT2_EEPKiS6_PKS3_S4_S6_S6_S8_S6_PiPS3_21rocsparse_index_base_SB_SB_b.kd
    .uniform_work_group_size: 1
    .uses_dynamic_stack: false
    .vgpr_count:     59
    .vgpr_spill_count: 0
    .wavefront_size: 64
  - .args:
      - .offset:         0
        .size:           4
        .value_kind:     by_value
      - .offset:         4
        .size:           4
        .value_kind:     by_value
      - .offset:         8
        .size:           4
        .value_kind:     by_value
      - .offset:         12
        .size:           4
        .value_kind:     by_value
      - .offset:         16
        .size:           8
        .value_kind:     by_value
      - .actual_access:  read_only
        .address_space:  global
        .offset:         24
        .size:           8
        .value_kind:     global_buffer
      - .actual_access:  read_only
        .address_space:  global
        .offset:         32
        .size:           8
        .value_kind:     global_buffer
      - .actual_access:  read_only
        .address_space:  global
        .offset:         40
        .size:           8
        .value_kind:     global_buffer
      - .offset:         48
        .size:           8
        .value_kind:     by_value
      - .actual_access:  read_only
        .address_space:  global
        .offset:         56
        .size:           8
        .value_kind:     global_buffer
      - .actual_access:  read_only
        .address_space:  global
        .offset:         64
        .size:           8
        .value_kind:     global_buffer
      - .actual_access:  read_only
        .address_space:  global
        .offset:         72
        .size:           8
        .value_kind:     global_buffer
      - .actual_access:  read_only
        .address_space:  global
        .offset:         80
        .size:           8
        .value_kind:     global_buffer
      - .actual_access:  write_only
        .address_space:  global
        .offset:         88
        .size:           8
        .value_kind:     global_buffer
      - .actual_access:  write_only
        .address_space:  global
        .offset:         96
        .size:           8
        .value_kind:     global_buffer
      - .offset:         104
        .size:           4
        .value_kind:     by_value
      - .offset:         108
        .size:           4
        .value_kind:     by_value
      - .offset:         112
        .size:           4
        .value_kind:     by_value
      - .offset:         116
        .size:           1
        .value_kind:     by_value
    .group_segment_fixed_size: 9472
    .kernarg_segment_align: 8
    .kernarg_segment_size: 120
    .language:       OpenCL C
    .language_version:
      - 2
      - 0
    .max_flat_workgroup_size: 256
    .name:           _ZN9rocsparseL39bsrgeam_wf_per_row_multipass_2_3_kernelILj256ELj3ELj64EfEEv20rocsparse_direction_iiiNS_24const_host_device_scalarIT2_EEPKiS6_PKS3_S4_S6_S6_S8_S6_PiPS3_21rocsparse_index_base_SB_SB_b
    .private_segment_fixed_size: 0
    .sgpr_count:     42
    .sgpr_spill_count: 0
    .symbol:         _ZN9rocsparseL39bsrgeam_wf_per_row_multipass_2_3_kernelILj256ELj3ELj64EfEEv20rocsparse_direction_iiiNS_24const_host_device_scalarIT2_EEPKiS6_PKS3_S4_S6_S6_S8_S6_PiPS3_21rocsparse_index_base_SB_SB_b.kd
    .uniform_work_group_size: 1
    .uses_dynamic_stack: false
    .vgpr_count:     61
    .vgpr_spill_count: 0
    .wavefront_size: 64
  - .args:
      - .offset:         0
        .size:           4
        .value_kind:     by_value
      - .offset:         4
        .size:           4
        .value_kind:     by_value
      - .offset:         8
        .size:           4
        .value_kind:     by_value
      - .offset:         12
        .size:           4
        .value_kind:     by_value
      - .offset:         16
        .size:           8
        .value_kind:     by_value
      - .actual_access:  read_only
        .address_space:  global
        .offset:         24
        .size:           8
        .value_kind:     global_buffer
      - .actual_access:  read_only
        .address_space:  global
        .offset:         32
        .size:           8
        .value_kind:     global_buffer
      - .actual_access:  read_only
        .address_space:  global
        .offset:         40
        .size:           8
        .value_kind:     global_buffer
      - .offset:         48
        .size:           8
        .value_kind:     by_value
      - .actual_access:  read_only
        .address_space:  global
        .offset:         56
        .size:           8
        .value_kind:     global_buffer
      - .actual_access:  read_only
        .address_space:  global
        .offset:         64
        .size:           8
        .value_kind:     global_buffer
      - .actual_access:  read_only
        .address_space:  global
        .offset:         72
        .size:           8
        .value_kind:     global_buffer
      - .actual_access:  read_only
        .address_space:  global
        .offset:         80
        .size:           8
        .value_kind:     global_buffer
      - .actual_access:  write_only
        .address_space:  global
        .offset:         88
        .size:           8
        .value_kind:     global_buffer
      - .actual_access:  write_only
        .address_space:  global
        .offset:         96
        .size:           8
        .value_kind:     global_buffer
      - .offset:         104
        .size:           4
        .value_kind:     by_value
      - .offset:         108
        .size:           4
        .value_kind:     by_value
      - .offset:         112
        .size:           4
        .value_kind:     by_value
      - .offset:         116
        .size:           1
        .value_kind:     by_value
    .group_segment_fixed_size: 288
    .kernarg_segment_align: 8
    .kernarg_segment_size: 120
    .language:       OpenCL C
    .language_version:
      - 2
      - 0
    .max_flat_workgroup_size: 64
    .name:           _ZN9rocsparseL35bsrgeam_wf_per_row_multipass_kernelILj64ELj4EfEEv20rocsparse_direction_iiiNS_24const_host_device_scalarIT1_EEPKiS6_PKS3_S4_S6_S6_S8_S6_PiPS3_21rocsparse_index_base_SB_SB_b
    .private_segment_fixed_size: 0
    .sgpr_count:     48
    .sgpr_spill_count: 0
    .symbol:         _ZN9rocsparseL35bsrgeam_wf_per_row_multipass_kernelILj64ELj4EfEEv20rocsparse_direction_iiiNS_24const_host_device_scalarIT1_EEPKiS6_PKS3_S4_S6_S6_S8_S6_PiPS3_21rocsparse_index_base_SB_SB_b.kd
    .uniform_work_group_size: 1
    .uses_dynamic_stack: false
    .vgpr_count:     28
    .vgpr_spill_count: 0
    .wavefront_size: 64
  - .args:
      - .offset:         0
        .size:           4
        .value_kind:     by_value
      - .offset:         4
        .size:           4
        .value_kind:     by_value
      - .offset:         8
        .size:           4
        .value_kind:     by_value
      - .offset:         12
        .size:           4
        .value_kind:     by_value
      - .offset:         16
        .size:           8
        .value_kind:     by_value
      - .actual_access:  read_only
        .address_space:  global
        .offset:         24
        .size:           8
        .value_kind:     global_buffer
      - .actual_access:  read_only
        .address_space:  global
        .offset:         32
        .size:           8
        .value_kind:     global_buffer
      - .actual_access:  read_only
        .address_space:  global
        .offset:         40
        .size:           8
        .value_kind:     global_buffer
      - .offset:         48
        .size:           8
        .value_kind:     by_value
      - .actual_access:  read_only
        .address_space:  global
        .offset:         56
        .size:           8
        .value_kind:     global_buffer
      - .actual_access:  read_only
        .address_space:  global
        .offset:         64
        .size:           8
        .value_kind:     global_buffer
      - .actual_access:  read_only
        .address_space:  global
        .offset:         72
        .size:           8
        .value_kind:     global_buffer
      - .actual_access:  read_only
        .address_space:  global
        .offset:         80
        .size:           8
        .value_kind:     global_buffer
      - .actual_access:  write_only
        .address_space:  global
        .offset:         88
        .size:           8
        .value_kind:     global_buffer
      - .actual_access:  write_only
        .address_space:  global
        .offset:         96
        .size:           8
        .value_kind:     global_buffer
      - .offset:         104
        .size:           4
        .value_kind:     by_value
      - .offset:         108
        .size:           4
        .value_kind:     by_value
      - .offset:         112
        .size:           4
        .value_kind:     by_value
      - .offset:         116
        .size:           1
        .value_kind:     by_value
    .group_segment_fixed_size: 264
    .kernarg_segment_align: 8
    .kernarg_segment_size: 120
    .language:       OpenCL C
    .language_version:
      - 2
      - 0
    .max_flat_workgroup_size: 64
    .name:           _ZN9rocsparseL35bsrgeam_wf_per_row_multipass_kernelILj64ELj8EfEEv20rocsparse_direction_iiiNS_24const_host_device_scalarIT1_EEPKiS6_PKS3_S4_S6_S6_S8_S6_PiPS3_21rocsparse_index_base_SB_SB_b
    .private_segment_fixed_size: 0
    .sgpr_count:     44
    .sgpr_spill_count: 0
    .symbol:         _ZN9rocsparseL35bsrgeam_wf_per_row_multipass_kernelILj64ELj8EfEEv20rocsparse_direction_iiiNS_24const_host_device_scalarIT1_EEPKiS6_PKS3_S4_S6_S6_S8_S6_PiPS3_21rocsparse_index_base_SB_SB_b.kd
    .uniform_work_group_size: 1
    .uses_dynamic_stack: false
    .vgpr_count:     27
    .vgpr_spill_count: 0
    .wavefront_size: 64
  - .args:
      - .offset:         0
        .size:           4
        .value_kind:     by_value
      - .offset:         4
        .size:           4
        .value_kind:     by_value
      - .offset:         8
        .size:           4
        .value_kind:     by_value
      - .offset:         12
        .size:           4
        .value_kind:     by_value
      - .offset:         16
        .size:           8
        .value_kind:     by_value
      - .actual_access:  read_only
        .address_space:  global
        .offset:         24
        .size:           8
        .value_kind:     global_buffer
      - .actual_access:  read_only
        .address_space:  global
        .offset:         32
        .size:           8
        .value_kind:     global_buffer
      - .actual_access:  read_only
        .address_space:  global
        .offset:         40
        .size:           8
        .value_kind:     global_buffer
      - .offset:         48
        .size:           8
        .value_kind:     by_value
      - .actual_access:  read_only
        .address_space:  global
        .offset:         56
        .size:           8
        .value_kind:     global_buffer
      - .actual_access:  read_only
        .address_space:  global
        .offset:         64
        .size:           8
        .value_kind:     global_buffer
      - .actual_access:  read_only
        .address_space:  global
        .offset:         72
        .size:           8
        .value_kind:     global_buffer
      - .actual_access:  read_only
        .address_space:  global
        .offset:         80
        .size:           8
        .value_kind:     global_buffer
      - .actual_access:  write_only
        .address_space:  global
        .offset:         88
        .size:           8
        .value_kind:     global_buffer
      - .actual_access:  write_only
        .address_space:  global
        .offset:         96
        .size:           8
        .value_kind:     global_buffer
      - .offset:         104
        .size:           4
        .value_kind:     by_value
      - .offset:         108
        .size:           4
        .value_kind:     by_value
      - .offset:         112
        .size:           4
        .value_kind:     by_value
      - .offset:         116
        .size:           1
        .value_kind:     by_value
    .group_segment_fixed_size: 1028
    .kernarg_segment_align: 8
    .kernarg_segment_size: 120
    .language:       OpenCL C
    .language_version:
      - 2
      - 0
    .max_flat_workgroup_size: 256
    .name:           _ZN9rocsparseL39bsrgeam_block_per_row_multipass_kernel2ILj256ELj16EfEEv20rocsparse_direction_iiiNS_24const_host_device_scalarIT1_EEPKiS6_PKS3_S4_S6_S6_S8_S6_PiPS3_21rocsparse_index_base_SB_SB_b
    .private_segment_fixed_size: 0
    .sgpr_count:     45
    .sgpr_spill_count: 0
    .symbol:         _ZN9rocsparseL39bsrgeam_block_per_row_multipass_kernel2ILj256ELj16EfEEv20rocsparse_direction_iiiNS_24const_host_device_scalarIT1_EEPKiS6_PKS3_S4_S6_S6_S8_S6_PiPS3_21rocsparse_index_base_SB_SB_b.kd
    .uniform_work_group_size: 1
    .uses_dynamic_stack: false
    .vgpr_count:     12
    .vgpr_spill_count: 0
    .wavefront_size: 64
  - .args:
      - .offset:         0
        .size:           4
        .value_kind:     by_value
      - .offset:         4
        .size:           4
        .value_kind:     by_value
      - .offset:         8
        .size:           4
        .value_kind:     by_value
      - .offset:         12
        .size:           4
        .value_kind:     by_value
      - .offset:         16
        .size:           8
        .value_kind:     by_value
      - .actual_access:  read_only
        .address_space:  global
        .offset:         24
        .size:           8
        .value_kind:     global_buffer
      - .actual_access:  read_only
        .address_space:  global
        .offset:         32
        .size:           8
        .value_kind:     global_buffer
      - .actual_access:  read_only
        .address_space:  global
        .offset:         40
        .size:           8
        .value_kind:     global_buffer
      - .offset:         48
        .size:           8
        .value_kind:     by_value
      - .actual_access:  read_only
        .address_space:  global
        .offset:         56
        .size:           8
        .value_kind:     global_buffer
      - .actual_access:  read_only
        .address_space:  global
        .offset:         64
        .size:           8
        .value_kind:     global_buffer
      - .actual_access:  read_only
        .address_space:  global
        .offset:         72
        .size:           8
        .value_kind:     global_buffer
      - .actual_access:  read_only
        .address_space:  global
        .offset:         80
        .size:           8
        .value_kind:     global_buffer
      - .actual_access:  write_only
        .address_space:  global
        .offset:         88
        .size:           8
        .value_kind:     global_buffer
      - .actual_access:  write_only
        .address_space:  global
        .offset:         96
        .size:           8
        .value_kind:     global_buffer
      - .offset:         104
        .size:           4
        .value_kind:     by_value
      - .offset:         108
        .size:           4
        .value_kind:     by_value
      - .offset:         112
        .size:           4
        .value_kind:     by_value
      - .offset:         116
        .size:           1
        .value_kind:     by_value
    .group_segment_fixed_size: 4100
    .kernarg_segment_align: 8
    .kernarg_segment_size: 120
    .language:       OpenCL C
    .language_version:
      - 2
      - 0
    .max_flat_workgroup_size: 256
    .name:           _ZN9rocsparseL39bsrgeam_block_per_row_multipass_kernel2ILj256ELj32EfEEv20rocsparse_direction_iiiNS_24const_host_device_scalarIT1_EEPKiS6_PKS3_S4_S6_S6_S8_S6_PiPS3_21rocsparse_index_base_SB_SB_b
    .private_segment_fixed_size: 0
    .sgpr_count:     53
    .sgpr_spill_count: 0
    .symbol:         _ZN9rocsparseL39bsrgeam_block_per_row_multipass_kernel2ILj256ELj32EfEEv20rocsparse_direction_iiiNS_24const_host_device_scalarIT1_EEPKiS6_PKS3_S4_S6_S6_S8_S6_PiPS3_21rocsparse_index_base_SB_SB_b.kd
    .uniform_work_group_size: 1
    .uses_dynamic_stack: false
    .vgpr_count:     24
    .vgpr_spill_count: 0
    .wavefront_size: 64
  - .args:
      - .offset:         0
        .size:           4
        .value_kind:     by_value
      - .offset:         4
        .size:           4
        .value_kind:     by_value
      - .offset:         8
        .size:           4
        .value_kind:     by_value
      - .offset:         12
        .size:           4
        .value_kind:     by_value
      - .offset:         16
        .size:           8
        .value_kind:     by_value
      - .actual_access:  read_only
        .address_space:  global
        .offset:         24
        .size:           8
        .value_kind:     global_buffer
      - .actual_access:  read_only
        .address_space:  global
        .offset:         32
        .size:           8
        .value_kind:     global_buffer
      - .actual_access:  read_only
        .address_space:  global
        .offset:         40
        .size:           8
        .value_kind:     global_buffer
      - .offset:         48
        .size:           8
        .value_kind:     by_value
      - .actual_access:  read_only
        .address_space:  global
        .offset:         56
        .size:           8
        .value_kind:     global_buffer
      - .actual_access:  read_only
        .address_space:  global
        .offset:         64
        .size:           8
        .value_kind:     global_buffer
      - .actual_access:  read_only
        .address_space:  global
        .offset:         72
        .size:           8
        .value_kind:     global_buffer
      - .actual_access:  read_only
        .address_space:  global
        .offset:         80
        .size:           8
        .value_kind:     global_buffer
      - .actual_access:  write_only
        .address_space:  global
        .offset:         88
        .size:           8
        .value_kind:     global_buffer
      - .actual_access:  write_only
        .address_space:  global
        .offset:         96
        .size:           8
        .value_kind:     global_buffer
      - .offset:         104
        .size:           4
        .value_kind:     by_value
      - .offset:         108
        .size:           4
        .value_kind:     by_value
      - .offset:         112
        .size:           4
        .value_kind:     by_value
      - .offset:         116
        .size:           1
        .value_kind:     by_value
    .group_segment_fixed_size: 8448
    .kernarg_segment_align: 8
    .kernarg_segment_size: 120
    .language:       OpenCL C
    .language_version:
      - 2
      - 0
    .max_flat_workgroup_size: 256
    .name:           _ZN9rocsparseL39bsrgeam_wf_per_row_multipass_2_3_kernelILj256ELj2ELj32EdEEv20rocsparse_direction_iiiNS_24const_host_device_scalarIT2_EEPKiS6_PKS3_S4_S6_S6_S8_S6_PiPS3_21rocsparse_index_base_SB_SB_b
    .private_segment_fixed_size: 0
    .sgpr_count:     34
    .sgpr_spill_count: 0
    .symbol:         _ZN9rocsparseL39bsrgeam_wf_per_row_multipass_2_3_kernelILj256ELj2ELj32EdEEv20rocsparse_direction_iiiNS_24const_host_device_scalarIT2_EEPKiS6_PKS3_S4_S6_S6_S8_S6_PiPS3_21rocsparse_index_base_SB_SB_b.kd
    .uniform_work_group_size: 1
    .uses_dynamic_stack: false
    .vgpr_count:     47
    .vgpr_spill_count: 0
    .wavefront_size: 64
  - .args:
      - .offset:         0
        .size:           4
        .value_kind:     by_value
      - .offset:         4
        .size:           4
        .value_kind:     by_value
      - .offset:         8
        .size:           4
        .value_kind:     by_value
      - .offset:         12
        .size:           4
        .value_kind:     by_value
      - .offset:         16
        .size:           8
        .value_kind:     by_value
      - .actual_access:  read_only
        .address_space:  global
        .offset:         24
        .size:           8
        .value_kind:     global_buffer
      - .actual_access:  read_only
        .address_space:  global
        .offset:         32
        .size:           8
        .value_kind:     global_buffer
      - .actual_access:  read_only
        .address_space:  global
        .offset:         40
        .size:           8
        .value_kind:     global_buffer
      - .offset:         48
        .size:           8
        .value_kind:     by_value
      - .actual_access:  read_only
        .address_space:  global
        .offset:         56
        .size:           8
        .value_kind:     global_buffer
      - .actual_access:  read_only
        .address_space:  global
        .offset:         64
        .size:           8
        .value_kind:     global_buffer
      - .actual_access:  read_only
        .address_space:  global
        .offset:         72
        .size:           8
        .value_kind:     global_buffer
      - .actual_access:  read_only
        .address_space:  global
        .offset:         80
        .size:           8
        .value_kind:     global_buffer
      - .actual_access:  write_only
        .address_space:  global
        .offset:         88
        .size:           8
        .value_kind:     global_buffer
      - .actual_access:  write_only
        .address_space:  global
        .offset:         96
        .size:           8
        .value_kind:     global_buffer
      - .offset:         104
        .size:           4
        .value_kind:     by_value
      - .offset:         108
        .size:           4
        .value_kind:     by_value
      - .offset:         112
        .size:           4
        .value_kind:     by_value
      - .offset:         116
        .size:           1
        .value_kind:     by_value
    .group_segment_fixed_size: 8448
    .kernarg_segment_align: 8
    .kernarg_segment_size: 120
    .language:       OpenCL C
    .language_version:
      - 2
      - 0
    .max_flat_workgroup_size: 256
    .name:           _ZN9rocsparseL39bsrgeam_wf_per_row_multipass_2_3_kernelILj256ELj2ELj64EdEEv20rocsparse_direction_iiiNS_24const_host_device_scalarIT2_EEPKiS6_PKS3_S4_S6_S6_S8_S6_PiPS3_21rocsparse_index_base_SB_SB_b
    .private_segment_fixed_size: 0
    .sgpr_count:     34
    .sgpr_spill_count: 0
    .symbol:         _ZN9rocsparseL39bsrgeam_wf_per_row_multipass_2_3_kernelILj256ELj2ELj64EdEEv20rocsparse_direction_iiiNS_24const_host_device_scalarIT2_EEPKiS6_PKS3_S4_S6_S6_S8_S6_PiPS3_21rocsparse_index_base_SB_SB_b.kd
    .uniform_work_group_size: 1
    .uses_dynamic_stack: false
    .vgpr_count:     49
    .vgpr_spill_count: 0
    .wavefront_size: 64
  - .args:
      - .offset:         0
        .size:           4
        .value_kind:     by_value
      - .offset:         4
        .size:           4
        .value_kind:     by_value
      - .offset:         8
        .size:           4
        .value_kind:     by_value
      - .offset:         12
        .size:           4
        .value_kind:     by_value
      - .offset:         16
        .size:           8
        .value_kind:     by_value
      - .actual_access:  read_only
        .address_space:  global
        .offset:         24
        .size:           8
        .value_kind:     global_buffer
      - .actual_access:  read_only
        .address_space:  global
        .offset:         32
        .size:           8
        .value_kind:     global_buffer
      - .actual_access:  read_only
        .address_space:  global
        .offset:         40
        .size:           8
        .value_kind:     global_buffer
      - .offset:         48
        .size:           8
        .value_kind:     by_value
      - .actual_access:  read_only
        .address_space:  global
        .offset:         56
        .size:           8
        .value_kind:     global_buffer
      - .actual_access:  read_only
        .address_space:  global
        .offset:         64
        .size:           8
        .value_kind:     global_buffer
      - .actual_access:  read_only
        .address_space:  global
        .offset:         72
        .size:           8
        .value_kind:     global_buffer
      - .actual_access:  read_only
        .address_space:  global
        .offset:         80
        .size:           8
        .value_kind:     global_buffer
      - .actual_access:  write_only
        .address_space:  global
        .offset:         88
        .size:           8
        .value_kind:     global_buffer
      - .actual_access:  write_only
        .address_space:  global
        .offset:         96
        .size:           8
        .value_kind:     global_buffer
      - .offset:         104
        .size:           4
        .value_kind:     by_value
      - .offset:         108
        .size:           4
        .value_kind:     by_value
      - .offset:         112
        .size:           4
        .value_kind:     by_value
      - .offset:         116
        .size:           1
        .value_kind:     by_value
    .group_segment_fixed_size: 18688
    .kernarg_segment_align: 8
    .kernarg_segment_size: 120
    .language:       OpenCL C
    .language_version:
      - 2
      - 0
    .max_flat_workgroup_size: 256
    .name:           _ZN9rocsparseL39bsrgeam_wf_per_row_multipass_2_3_kernelILj256ELj3ELj32EdEEv20rocsparse_direction_iiiNS_24const_host_device_scalarIT2_EEPKiS6_PKS3_S4_S6_S6_S8_S6_PiPS3_21rocsparse_index_base_SB_SB_b
    .private_segment_fixed_size: 0
    .sgpr_count:     43
    .sgpr_spill_count: 0
    .symbol:         _ZN9rocsparseL39bsrgeam_wf_per_row_multipass_2_3_kernelILj256ELj3ELj32EdEEv20rocsparse_direction_iiiNS_24const_host_device_scalarIT2_EEPKiS6_PKS3_S4_S6_S6_S8_S6_PiPS3_21rocsparse_index_base_SB_SB_b.kd
    .uniform_work_group_size: 1
    .uses_dynamic_stack: false
    .vgpr_count:     78
    .vgpr_spill_count: 0
    .wavefront_size: 64
  - .args:
      - .offset:         0
        .size:           4
        .value_kind:     by_value
      - .offset:         4
        .size:           4
        .value_kind:     by_value
      - .offset:         8
        .size:           4
        .value_kind:     by_value
      - .offset:         12
        .size:           4
        .value_kind:     by_value
      - .offset:         16
        .size:           8
        .value_kind:     by_value
      - .actual_access:  read_only
        .address_space:  global
        .offset:         24
        .size:           8
        .value_kind:     global_buffer
      - .actual_access:  read_only
        .address_space:  global
        .offset:         32
        .size:           8
        .value_kind:     global_buffer
      - .actual_access:  read_only
        .address_space:  global
        .offset:         40
        .size:           8
        .value_kind:     global_buffer
      - .offset:         48
        .size:           8
        .value_kind:     by_value
      - .actual_access:  read_only
        .address_space:  global
        .offset:         56
        .size:           8
        .value_kind:     global_buffer
      - .actual_access:  read_only
        .address_space:  global
        .offset:         64
        .size:           8
        .value_kind:     global_buffer
      - .actual_access:  read_only
        .address_space:  global
        .offset:         72
        .size:           8
        .value_kind:     global_buffer
      - .actual_access:  read_only
        .address_space:  global
        .offset:         80
        .size:           8
        .value_kind:     global_buffer
      - .actual_access:  write_only
        .address_space:  global
        .offset:         88
        .size:           8
        .value_kind:     global_buffer
      - .actual_access:  write_only
        .address_space:  global
        .offset:         96
        .size:           8
        .value_kind:     global_buffer
      - .offset:         104
        .size:           4
        .value_kind:     by_value
      - .offset:         108
        .size:           4
        .value_kind:     by_value
      - .offset:         112
        .size:           4
        .value_kind:     by_value
      - .offset:         116
        .size:           1
        .value_kind:     by_value
    .group_segment_fixed_size: 18688
    .kernarg_segment_align: 8
    .kernarg_segment_size: 120
    .language:       OpenCL C
    .language_version:
      - 2
      - 0
    .max_flat_workgroup_size: 256
    .name:           _ZN9rocsparseL39bsrgeam_wf_per_row_multipass_2_3_kernelILj256ELj3ELj64EdEEv20rocsparse_direction_iiiNS_24const_host_device_scalarIT2_EEPKiS6_PKS3_S4_S6_S6_S8_S6_PiPS3_21rocsparse_index_base_SB_SB_b
    .private_segment_fixed_size: 0
    .sgpr_count:     43
    .sgpr_spill_count: 0
    .symbol:         _ZN9rocsparseL39bsrgeam_wf_per_row_multipass_2_3_kernelILj256ELj3ELj64EdEEv20rocsparse_direction_iiiNS_24const_host_device_scalarIT2_EEPKiS6_PKS3_S4_S6_S6_S8_S6_PiPS3_21rocsparse_index_base_SB_SB_b.kd
    .uniform_work_group_size: 1
    .uses_dynamic_stack: false
    .vgpr_count:     80
    .vgpr_spill_count: 0
    .wavefront_size: 64
  - .args:
      - .offset:         0
        .size:           4
        .value_kind:     by_value
      - .offset:         4
        .size:           4
        .value_kind:     by_value
      - .offset:         8
        .size:           4
        .value_kind:     by_value
      - .offset:         12
        .size:           4
        .value_kind:     by_value
      - .offset:         16
        .size:           8
        .value_kind:     by_value
      - .actual_access:  read_only
        .address_space:  global
        .offset:         24
        .size:           8
        .value_kind:     global_buffer
      - .actual_access:  read_only
        .address_space:  global
        .offset:         32
        .size:           8
        .value_kind:     global_buffer
      - .actual_access:  read_only
        .address_space:  global
        .offset:         40
        .size:           8
        .value_kind:     global_buffer
      - .offset:         48
        .size:           8
        .value_kind:     by_value
      - .actual_access:  read_only
        .address_space:  global
        .offset:         56
        .size:           8
        .value_kind:     global_buffer
      - .actual_access:  read_only
        .address_space:  global
        .offset:         64
        .size:           8
        .value_kind:     global_buffer
      - .actual_access:  read_only
        .address_space:  global
        .offset:         72
        .size:           8
        .value_kind:     global_buffer
      - .actual_access:  read_only
        .address_space:  global
        .offset:         80
        .size:           8
        .value_kind:     global_buffer
      - .actual_access:  write_only
        .address_space:  global
        .offset:         88
        .size:           8
        .value_kind:     global_buffer
      - .actual_access:  write_only
        .address_space:  global
        .offset:         96
        .size:           8
        .value_kind:     global_buffer
      - .offset:         104
        .size:           4
        .value_kind:     by_value
      - .offset:         108
        .size:           4
        .value_kind:     by_value
      - .offset:         112
        .size:           4
        .value_kind:     by_value
      - .offset:         116
        .size:           1
        .value_kind:     by_value
    .group_segment_fixed_size: 544
    .kernarg_segment_align: 8
    .kernarg_segment_size: 120
    .language:       OpenCL C
    .language_version:
      - 2
      - 0
    .max_flat_workgroup_size: 64
    .name:           _ZN9rocsparseL35bsrgeam_wf_per_row_multipass_kernelILj64ELj4EdEEv20rocsparse_direction_iiiNS_24const_host_device_scalarIT1_EEPKiS6_PKS3_S4_S6_S6_S8_S6_PiPS3_21rocsparse_index_base_SB_SB_b
    .private_segment_fixed_size: 0
    .sgpr_count:     44
    .sgpr_spill_count: 0
    .symbol:         _ZN9rocsparseL35bsrgeam_wf_per_row_multipass_kernelILj64ELj4EdEEv20rocsparse_direction_iiiNS_24const_host_device_scalarIT1_EEPKiS6_PKS3_S4_S6_S6_S8_S6_PiPS3_21rocsparse_index_base_SB_SB_b.kd
    .uniform_work_group_size: 1
    .uses_dynamic_stack: false
    .vgpr_count:     34
    .vgpr_spill_count: 0
    .wavefront_size: 64
  - .args:
      - .offset:         0
        .size:           4
        .value_kind:     by_value
      - .offset:         4
        .size:           4
        .value_kind:     by_value
      - .offset:         8
        .size:           4
        .value_kind:     by_value
      - .offset:         12
        .size:           4
        .value_kind:     by_value
      - .offset:         16
        .size:           8
        .value_kind:     by_value
      - .actual_access:  read_only
        .address_space:  global
        .offset:         24
        .size:           8
        .value_kind:     global_buffer
      - .actual_access:  read_only
        .address_space:  global
        .offset:         32
        .size:           8
        .value_kind:     global_buffer
      - .actual_access:  read_only
        .address_space:  global
        .offset:         40
        .size:           8
        .value_kind:     global_buffer
      - .offset:         48
        .size:           8
        .value_kind:     by_value
      - .actual_access:  read_only
        .address_space:  global
        .offset:         56
        .size:           8
        .value_kind:     global_buffer
      - .actual_access:  read_only
        .address_space:  global
        .offset:         64
        .size:           8
        .value_kind:     global_buffer
      - .actual_access:  read_only
        .address_space:  global
        .offset:         72
        .size:           8
        .value_kind:     global_buffer
      - .actual_access:  read_only
        .address_space:  global
        .offset:         80
        .size:           8
        .value_kind:     global_buffer
      - .actual_access:  write_only
        .address_space:  global
        .offset:         88
        .size:           8
        .value_kind:     global_buffer
      - .actual_access:  write_only
        .address_space:  global
        .offset:         96
        .size:           8
        .value_kind:     global_buffer
      - .offset:         104
        .size:           4
        .value_kind:     by_value
      - .offset:         108
        .size:           4
        .value_kind:     by_value
      - .offset:         112
        .size:           4
        .value_kind:     by_value
      - .offset:         116
        .size:           1
        .value_kind:     by_value
    .group_segment_fixed_size: 520
    .kernarg_segment_align: 8
    .kernarg_segment_size: 120
    .language:       OpenCL C
    .language_version:
      - 2
      - 0
    .max_flat_workgroup_size: 64
    .name:           _ZN9rocsparseL35bsrgeam_wf_per_row_multipass_kernelILj64ELj8EdEEv20rocsparse_direction_iiiNS_24const_host_device_scalarIT1_EEPKiS6_PKS3_S4_S6_S6_S8_S6_PiPS3_21rocsparse_index_base_SB_SB_b
    .private_segment_fixed_size: 0
    .sgpr_count:     40
    .sgpr_spill_count: 0
    .symbol:         _ZN9rocsparseL35bsrgeam_wf_per_row_multipass_kernelILj64ELj8EdEEv20rocsparse_direction_iiiNS_24const_host_device_scalarIT1_EEPKiS6_PKS3_S4_S6_S6_S8_S6_PiPS3_21rocsparse_index_base_SB_SB_b.kd
    .uniform_work_group_size: 1
    .uses_dynamic_stack: false
    .vgpr_count:     33
    .vgpr_spill_count: 0
    .wavefront_size: 64
  - .args:
      - .offset:         0
        .size:           4
        .value_kind:     by_value
      - .offset:         4
        .size:           4
        .value_kind:     by_value
      - .offset:         8
        .size:           4
        .value_kind:     by_value
      - .offset:         12
        .size:           4
        .value_kind:     by_value
      - .offset:         16
        .size:           8
        .value_kind:     by_value
      - .actual_access:  read_only
        .address_space:  global
        .offset:         24
        .size:           8
        .value_kind:     global_buffer
      - .actual_access:  read_only
        .address_space:  global
        .offset:         32
        .size:           8
        .value_kind:     global_buffer
      - .actual_access:  read_only
        .address_space:  global
        .offset:         40
        .size:           8
        .value_kind:     global_buffer
      - .offset:         48
        .size:           8
        .value_kind:     by_value
      - .actual_access:  read_only
        .address_space:  global
        .offset:         56
        .size:           8
        .value_kind:     global_buffer
      - .actual_access:  read_only
        .address_space:  global
        .offset:         64
        .size:           8
        .value_kind:     global_buffer
      - .actual_access:  read_only
        .address_space:  global
        .offset:         72
        .size:           8
        .value_kind:     global_buffer
      - .actual_access:  read_only
        .address_space:  global
        .offset:         80
        .size:           8
        .value_kind:     global_buffer
      - .actual_access:  write_only
        .address_space:  global
        .offset:         88
        .size:           8
        .value_kind:     global_buffer
      - .actual_access:  write_only
        .address_space:  global
        .offset:         96
        .size:           8
        .value_kind:     global_buffer
      - .offset:         104
        .size:           4
        .value_kind:     by_value
      - .offset:         108
        .size:           4
        .value_kind:     by_value
      - .offset:         112
        .size:           4
        .value_kind:     by_value
      - .offset:         116
        .size:           1
        .value_kind:     by_value
    .group_segment_fixed_size: 2056
    .kernarg_segment_align: 8
    .kernarg_segment_size: 120
    .language:       OpenCL C
    .language_version:
      - 2
      - 0
    .max_flat_workgroup_size: 256
    .name:           _ZN9rocsparseL39bsrgeam_block_per_row_multipass_kernel2ILj256ELj16EdEEv20rocsparse_direction_iiiNS_24const_host_device_scalarIT1_EEPKiS6_PKS3_S4_S6_S6_S8_S6_PiPS3_21rocsparse_index_base_SB_SB_b
    .private_segment_fixed_size: 0
    .sgpr_count:     44
    .sgpr_spill_count: 0
    .symbol:         _ZN9rocsparseL39bsrgeam_block_per_row_multipass_kernel2ILj256ELj16EdEEv20rocsparse_direction_iiiNS_24const_host_device_scalarIT1_EEPKiS6_PKS3_S4_S6_S6_S8_S6_PiPS3_21rocsparse_index_base_SB_SB_b.kd
    .uniform_work_group_size: 1
    .uses_dynamic_stack: false
    .vgpr_count:     20
    .vgpr_spill_count: 0
    .wavefront_size: 64
  - .args:
      - .offset:         0
        .size:           4
        .value_kind:     by_value
      - .offset:         4
        .size:           4
        .value_kind:     by_value
      - .offset:         8
        .size:           4
        .value_kind:     by_value
      - .offset:         12
        .size:           4
        .value_kind:     by_value
      - .offset:         16
        .size:           8
        .value_kind:     by_value
      - .actual_access:  read_only
        .address_space:  global
        .offset:         24
        .size:           8
        .value_kind:     global_buffer
      - .actual_access:  read_only
        .address_space:  global
        .offset:         32
        .size:           8
        .value_kind:     global_buffer
      - .actual_access:  read_only
        .address_space:  global
        .offset:         40
        .size:           8
        .value_kind:     global_buffer
      - .offset:         48
        .size:           8
        .value_kind:     by_value
      - .actual_access:  read_only
        .address_space:  global
        .offset:         56
        .size:           8
        .value_kind:     global_buffer
      - .actual_access:  read_only
        .address_space:  global
        .offset:         64
        .size:           8
        .value_kind:     global_buffer
      - .actual_access:  read_only
        .address_space:  global
        .offset:         72
        .size:           8
        .value_kind:     global_buffer
      - .actual_access:  read_only
        .address_space:  global
        .offset:         80
        .size:           8
        .value_kind:     global_buffer
      - .actual_access:  write_only
        .address_space:  global
        .offset:         88
        .size:           8
        .value_kind:     global_buffer
      - .actual_access:  write_only
        .address_space:  global
        .offset:         96
        .size:           8
        .value_kind:     global_buffer
      - .offset:         104
        .size:           4
        .value_kind:     by_value
      - .offset:         108
        .size:           4
        .value_kind:     by_value
      - .offset:         112
        .size:           4
        .value_kind:     by_value
      - .offset:         116
        .size:           1
        .value_kind:     by_value
    .group_segment_fixed_size: 8200
    .kernarg_segment_align: 8
    .kernarg_segment_size: 120
    .language:       OpenCL C
    .language_version:
      - 2
      - 0
    .max_flat_workgroup_size: 256
    .name:           _ZN9rocsparseL39bsrgeam_block_per_row_multipass_kernel2ILj256ELj32EdEEv20rocsparse_direction_iiiNS_24const_host_device_scalarIT1_EEPKiS6_PKS3_S4_S6_S6_S8_S6_PiPS3_21rocsparse_index_base_SB_SB_b
    .private_segment_fixed_size: 0
    .sgpr_count:     52
    .sgpr_spill_count: 0
    .symbol:         _ZN9rocsparseL39bsrgeam_block_per_row_multipass_kernel2ILj256ELj32EdEEv20rocsparse_direction_iiiNS_24const_host_device_scalarIT1_EEPKiS6_PKS3_S4_S6_S6_S8_S6_PiPS3_21rocsparse_index_base_SB_SB_b.kd
    .uniform_work_group_size: 1
    .uses_dynamic_stack: false
    .vgpr_count:     32
    .vgpr_spill_count: 0
    .wavefront_size: 64
  - .args:
      - .offset:         0
        .size:           4
        .value_kind:     by_value
      - .offset:         4
        .size:           4
        .value_kind:     by_value
      - .offset:         8
        .size:           4
        .value_kind:     by_value
      - .offset:         12
        .size:           4
        .value_kind:     by_value
      - .offset:         16
        .size:           8
        .value_kind:     by_value
      - .actual_access:  read_only
        .address_space:  global
        .offset:         24
        .size:           8
        .value_kind:     global_buffer
      - .actual_access:  read_only
        .address_space:  global
        .offset:         32
        .size:           8
        .value_kind:     global_buffer
      - .actual_access:  read_only
        .address_space:  global
        .offset:         40
        .size:           8
        .value_kind:     global_buffer
      - .offset:         48
        .size:           8
        .value_kind:     by_value
      - .actual_access:  read_only
        .address_space:  global
        .offset:         56
        .size:           8
        .value_kind:     global_buffer
      - .actual_access:  read_only
        .address_space:  global
        .offset:         64
        .size:           8
        .value_kind:     global_buffer
      - .actual_access:  read_only
        .address_space:  global
        .offset:         72
        .size:           8
        .value_kind:     global_buffer
      - .actual_access:  read_only
        .address_space:  global
        .offset:         80
        .size:           8
        .value_kind:     global_buffer
      - .actual_access:  write_only
        .address_space:  global
        .offset:         88
        .size:           8
        .value_kind:     global_buffer
      - .actual_access:  write_only
        .address_space:  global
        .offset:         96
        .size:           8
        .value_kind:     global_buffer
      - .offset:         104
        .size:           4
        .value_kind:     by_value
      - .offset:         108
        .size:           4
        .value_kind:     by_value
      - .offset:         112
        .size:           4
        .value_kind:     by_value
      - .offset:         116
        .size:           1
        .value_kind:     by_value
    .group_segment_fixed_size: 8448
    .kernarg_segment_align: 8
    .kernarg_segment_size: 120
    .language:       OpenCL C
    .language_version:
      - 2
      - 0
    .max_flat_workgroup_size: 256
    .name:           _ZN9rocsparseL39bsrgeam_wf_per_row_multipass_2_3_kernelILj256ELj2ELj32E21rocsparse_complex_numIfEEEv20rocsparse_direction_iiiNS_24const_host_device_scalarIT2_EEPKiS8_PKS5_S6_S8_S8_SA_S8_PiPS5_21rocsparse_index_base_SD_SD_b
    .private_segment_fixed_size: 0
    .sgpr_count:     40
    .sgpr_spill_count: 0
    .symbol:         _ZN9rocsparseL39bsrgeam_wf_per_row_multipass_2_3_kernelILj256ELj2ELj32E21rocsparse_complex_numIfEEEv20rocsparse_direction_iiiNS_24const_host_device_scalarIT2_EEPKiS8_PKS5_S6_S8_S8_SA_S8_PiPS5_21rocsparse_index_base_SD_SD_b.kd
    .uniform_work_group_size: 1
    .uses_dynamic_stack: false
    .vgpr_count:     45
    .vgpr_spill_count: 0
    .wavefront_size: 64
  - .args:
      - .offset:         0
        .size:           4
        .value_kind:     by_value
      - .offset:         4
        .size:           4
        .value_kind:     by_value
      - .offset:         8
        .size:           4
        .value_kind:     by_value
      - .offset:         12
        .size:           4
        .value_kind:     by_value
      - .offset:         16
        .size:           8
        .value_kind:     by_value
      - .actual_access:  read_only
        .address_space:  global
        .offset:         24
        .size:           8
        .value_kind:     global_buffer
      - .actual_access:  read_only
        .address_space:  global
        .offset:         32
        .size:           8
        .value_kind:     global_buffer
      - .actual_access:  read_only
        .address_space:  global
        .offset:         40
        .size:           8
        .value_kind:     global_buffer
      - .offset:         48
        .size:           8
        .value_kind:     by_value
      - .actual_access:  read_only
        .address_space:  global
        .offset:         56
        .size:           8
        .value_kind:     global_buffer
      - .actual_access:  read_only
        .address_space:  global
        .offset:         64
        .size:           8
        .value_kind:     global_buffer
      - .actual_access:  read_only
        .address_space:  global
        .offset:         72
        .size:           8
        .value_kind:     global_buffer
      - .actual_access:  read_only
        .address_space:  global
        .offset:         80
        .size:           8
        .value_kind:     global_buffer
      - .actual_access:  write_only
        .address_space:  global
        .offset:         88
        .size:           8
        .value_kind:     global_buffer
      - .actual_access:  write_only
        .address_space:  global
        .offset:         96
        .size:           8
        .value_kind:     global_buffer
      - .offset:         104
        .size:           4
        .value_kind:     by_value
      - .offset:         108
        .size:           4
        .value_kind:     by_value
      - .offset:         112
        .size:           4
        .value_kind:     by_value
      - .offset:         116
        .size:           1
        .value_kind:     by_value
    .group_segment_fixed_size: 8448
    .kernarg_segment_align: 8
    .kernarg_segment_size: 120
    .language:       OpenCL C
    .language_version:
      - 2
      - 0
    .max_flat_workgroup_size: 256
    .name:           _ZN9rocsparseL39bsrgeam_wf_per_row_multipass_2_3_kernelILj256ELj2ELj64E21rocsparse_complex_numIfEEEv20rocsparse_direction_iiiNS_24const_host_device_scalarIT2_EEPKiS8_PKS5_S6_S8_S8_SA_S8_PiPS5_21rocsparse_index_base_SD_SD_b
    .private_segment_fixed_size: 0
    .sgpr_count:     40
    .sgpr_spill_count: 0
    .symbol:         _ZN9rocsparseL39bsrgeam_wf_per_row_multipass_2_3_kernelILj256ELj2ELj64E21rocsparse_complex_numIfEEEv20rocsparse_direction_iiiNS_24const_host_device_scalarIT2_EEPKiS8_PKS5_S6_S8_S8_SA_S8_PiPS5_21rocsparse_index_base_SD_SD_b.kd
    .uniform_work_group_size: 1
    .uses_dynamic_stack: false
    .vgpr_count:     47
    .vgpr_spill_count: 0
    .wavefront_size: 64
  - .args:
      - .offset:         0
        .size:           4
        .value_kind:     by_value
      - .offset:         4
        .size:           4
        .value_kind:     by_value
      - .offset:         8
        .size:           4
        .value_kind:     by_value
      - .offset:         12
        .size:           4
        .value_kind:     by_value
      - .offset:         16
        .size:           8
        .value_kind:     by_value
      - .actual_access:  read_only
        .address_space:  global
        .offset:         24
        .size:           8
        .value_kind:     global_buffer
      - .actual_access:  read_only
        .address_space:  global
        .offset:         32
        .size:           8
        .value_kind:     global_buffer
      - .actual_access:  read_only
        .address_space:  global
        .offset:         40
        .size:           8
        .value_kind:     global_buffer
      - .offset:         48
        .size:           8
        .value_kind:     by_value
      - .actual_access:  read_only
        .address_space:  global
        .offset:         56
        .size:           8
        .value_kind:     global_buffer
      - .actual_access:  read_only
        .address_space:  global
        .offset:         64
        .size:           8
        .value_kind:     global_buffer
      - .actual_access:  read_only
        .address_space:  global
        .offset:         72
        .size:           8
        .value_kind:     global_buffer
      - .actual_access:  read_only
        .address_space:  global
        .offset:         80
        .size:           8
        .value_kind:     global_buffer
      - .actual_access:  write_only
        .address_space:  global
        .offset:         88
        .size:           8
        .value_kind:     global_buffer
      - .actual_access:  write_only
        .address_space:  global
        .offset:         96
        .size:           8
        .value_kind:     global_buffer
      - .offset:         104
        .size:           4
        .value_kind:     by_value
      - .offset:         108
        .size:           4
        .value_kind:     by_value
      - .offset:         112
        .size:           4
        .value_kind:     by_value
      - .offset:         116
        .size:           1
        .value_kind:     by_value
    .group_segment_fixed_size: 18688
    .kernarg_segment_align: 8
    .kernarg_segment_size: 120
    .language:       OpenCL C
    .language_version:
      - 2
      - 0
    .max_flat_workgroup_size: 256
    .name:           _ZN9rocsparseL39bsrgeam_wf_per_row_multipass_2_3_kernelILj256ELj3ELj32E21rocsparse_complex_numIfEEEv20rocsparse_direction_iiiNS_24const_host_device_scalarIT2_EEPKiS8_PKS5_S6_S8_S8_SA_S8_PiPS5_21rocsparse_index_base_SD_SD_b
    .private_segment_fixed_size: 0
    .sgpr_count:     45
    .sgpr_spill_count: 0
    .symbol:         _ZN9rocsparseL39bsrgeam_wf_per_row_multipass_2_3_kernelILj256ELj3ELj32E21rocsparse_complex_numIfEEEv20rocsparse_direction_iiiNS_24const_host_device_scalarIT2_EEPKiS8_PKS5_S6_S8_S8_SA_S8_PiPS5_21rocsparse_index_base_SD_SD_b.kd
    .uniform_work_group_size: 1
    .uses_dynamic_stack: false
    .vgpr_count:     74
    .vgpr_spill_count: 0
    .wavefront_size: 64
  - .args:
      - .offset:         0
        .size:           4
        .value_kind:     by_value
      - .offset:         4
        .size:           4
        .value_kind:     by_value
      - .offset:         8
        .size:           4
        .value_kind:     by_value
      - .offset:         12
        .size:           4
        .value_kind:     by_value
      - .offset:         16
        .size:           8
        .value_kind:     by_value
      - .actual_access:  read_only
        .address_space:  global
        .offset:         24
        .size:           8
        .value_kind:     global_buffer
      - .actual_access:  read_only
        .address_space:  global
        .offset:         32
        .size:           8
        .value_kind:     global_buffer
      - .actual_access:  read_only
        .address_space:  global
        .offset:         40
        .size:           8
        .value_kind:     global_buffer
      - .offset:         48
        .size:           8
        .value_kind:     by_value
      - .actual_access:  read_only
        .address_space:  global
        .offset:         56
        .size:           8
        .value_kind:     global_buffer
      - .actual_access:  read_only
        .address_space:  global
        .offset:         64
        .size:           8
        .value_kind:     global_buffer
      - .actual_access:  read_only
        .address_space:  global
        .offset:         72
        .size:           8
        .value_kind:     global_buffer
      - .actual_access:  read_only
        .address_space:  global
        .offset:         80
        .size:           8
        .value_kind:     global_buffer
      - .actual_access:  write_only
        .address_space:  global
        .offset:         88
        .size:           8
        .value_kind:     global_buffer
      - .actual_access:  write_only
        .address_space:  global
        .offset:         96
        .size:           8
        .value_kind:     global_buffer
      - .offset:         104
        .size:           4
        .value_kind:     by_value
      - .offset:         108
        .size:           4
        .value_kind:     by_value
      - .offset:         112
        .size:           4
        .value_kind:     by_value
      - .offset:         116
        .size:           1
        .value_kind:     by_value
    .group_segment_fixed_size: 18688
    .kernarg_segment_align: 8
    .kernarg_segment_size: 120
    .language:       OpenCL C
    .language_version:
      - 2
      - 0
    .max_flat_workgroup_size: 256
    .name:           _ZN9rocsparseL39bsrgeam_wf_per_row_multipass_2_3_kernelILj256ELj3ELj64E21rocsparse_complex_numIfEEEv20rocsparse_direction_iiiNS_24const_host_device_scalarIT2_EEPKiS8_PKS5_S6_S8_S8_SA_S8_PiPS5_21rocsparse_index_base_SD_SD_b
    .private_segment_fixed_size: 0
    .sgpr_count:     45
    .sgpr_spill_count: 0
    .symbol:         _ZN9rocsparseL39bsrgeam_wf_per_row_multipass_2_3_kernelILj256ELj3ELj64E21rocsparse_complex_numIfEEEv20rocsparse_direction_iiiNS_24const_host_device_scalarIT2_EEPKiS8_PKS5_S6_S8_S8_SA_S8_PiPS5_21rocsparse_index_base_SD_SD_b.kd
    .uniform_work_group_size: 1
    .uses_dynamic_stack: false
    .vgpr_count:     76
    .vgpr_spill_count: 0
    .wavefront_size: 64
  - .args:
      - .offset:         0
        .size:           4
        .value_kind:     by_value
      - .offset:         4
        .size:           4
        .value_kind:     by_value
      - .offset:         8
        .size:           4
        .value_kind:     by_value
      - .offset:         12
        .size:           4
        .value_kind:     by_value
      - .offset:         16
        .size:           8
        .value_kind:     by_value
      - .actual_access:  read_only
        .address_space:  global
        .offset:         24
        .size:           8
        .value_kind:     global_buffer
      - .actual_access:  read_only
        .address_space:  global
        .offset:         32
        .size:           8
        .value_kind:     global_buffer
      - .actual_access:  read_only
        .address_space:  global
        .offset:         40
        .size:           8
        .value_kind:     global_buffer
      - .offset:         48
        .size:           8
        .value_kind:     by_value
      - .actual_access:  read_only
        .address_space:  global
        .offset:         56
        .size:           8
        .value_kind:     global_buffer
      - .actual_access:  read_only
        .address_space:  global
        .offset:         64
        .size:           8
        .value_kind:     global_buffer
      - .actual_access:  read_only
        .address_space:  global
        .offset:         72
        .size:           8
        .value_kind:     global_buffer
      - .actual_access:  read_only
        .address_space:  global
        .offset:         80
        .size:           8
        .value_kind:     global_buffer
      - .actual_access:  write_only
        .address_space:  global
        .offset:         88
        .size:           8
        .value_kind:     global_buffer
      - .actual_access:  write_only
        .address_space:  global
        .offset:         96
        .size:           8
        .value_kind:     global_buffer
      - .offset:         104
        .size:           4
        .value_kind:     by_value
      - .offset:         108
        .size:           4
        .value_kind:     by_value
      - .offset:         112
        .size:           4
        .value_kind:     by_value
      - .offset:         116
        .size:           1
        .value_kind:     by_value
    .group_segment_fixed_size: 544
    .kernarg_segment_align: 8
    .kernarg_segment_size: 120
    .language:       OpenCL C
    .language_version:
      - 2
      - 0
    .max_flat_workgroup_size: 64
    .name:           _ZN9rocsparseL35bsrgeam_wf_per_row_multipass_kernelILj64ELj4E21rocsparse_complex_numIfEEEv20rocsparse_direction_iiiNS_24const_host_device_scalarIT1_EEPKiS8_PKS5_S6_S8_S8_SA_S8_PiPS5_21rocsparse_index_base_SD_SD_b
    .private_segment_fixed_size: 0
    .sgpr_count:     46
    .sgpr_spill_count: 0
    .symbol:         _ZN9rocsparseL35bsrgeam_wf_per_row_multipass_kernelILj64ELj4E21rocsparse_complex_numIfEEEv20rocsparse_direction_iiiNS_24const_host_device_scalarIT1_EEPKiS8_PKS5_S6_S8_S8_SA_S8_PiPS5_21rocsparse_index_base_SD_SD_b.kd
    .uniform_work_group_size: 1
    .uses_dynamic_stack: false
    .vgpr_count:     27
    .vgpr_spill_count: 0
    .wavefront_size: 64
  - .args:
      - .offset:         0
        .size:           4
        .value_kind:     by_value
      - .offset:         4
        .size:           4
        .value_kind:     by_value
      - .offset:         8
        .size:           4
        .value_kind:     by_value
      - .offset:         12
        .size:           4
        .value_kind:     by_value
      - .offset:         16
        .size:           8
        .value_kind:     by_value
      - .actual_access:  read_only
        .address_space:  global
        .offset:         24
        .size:           8
        .value_kind:     global_buffer
      - .actual_access:  read_only
        .address_space:  global
        .offset:         32
        .size:           8
        .value_kind:     global_buffer
      - .actual_access:  read_only
        .address_space:  global
        .offset:         40
        .size:           8
        .value_kind:     global_buffer
      - .offset:         48
        .size:           8
        .value_kind:     by_value
      - .actual_access:  read_only
        .address_space:  global
        .offset:         56
        .size:           8
        .value_kind:     global_buffer
      - .actual_access:  read_only
        .address_space:  global
        .offset:         64
        .size:           8
        .value_kind:     global_buffer
      - .actual_access:  read_only
        .address_space:  global
        .offset:         72
        .size:           8
        .value_kind:     global_buffer
      - .actual_access:  read_only
        .address_space:  global
        .offset:         80
        .size:           8
        .value_kind:     global_buffer
      - .actual_access:  write_only
        .address_space:  global
        .offset:         88
        .size:           8
        .value_kind:     global_buffer
      - .actual_access:  write_only
        .address_space:  global
        .offset:         96
        .size:           8
        .value_kind:     global_buffer
      - .offset:         104
        .size:           4
        .value_kind:     by_value
      - .offset:         108
        .size:           4
        .value_kind:     by_value
      - .offset:         112
        .size:           4
        .value_kind:     by_value
      - .offset:         116
        .size:           1
        .value_kind:     by_value
    .group_segment_fixed_size: 520
    .kernarg_segment_align: 8
    .kernarg_segment_size: 120
    .language:       OpenCL C
    .language_version:
      - 2
      - 0
    .max_flat_workgroup_size: 64
    .name:           _ZN9rocsparseL35bsrgeam_wf_per_row_multipass_kernelILj64ELj8E21rocsparse_complex_numIfEEEv20rocsparse_direction_iiiNS_24const_host_device_scalarIT1_EEPKiS8_PKS5_S6_S8_S8_SA_S8_PiPS5_21rocsparse_index_base_SD_SD_b
    .private_segment_fixed_size: 0
    .sgpr_count:     42
    .sgpr_spill_count: 0
    .symbol:         _ZN9rocsparseL35bsrgeam_wf_per_row_multipass_kernelILj64ELj8E21rocsparse_complex_numIfEEEv20rocsparse_direction_iiiNS_24const_host_device_scalarIT1_EEPKiS8_PKS5_S6_S8_S8_SA_S8_PiPS5_21rocsparse_index_base_SD_SD_b.kd
    .uniform_work_group_size: 1
    .uses_dynamic_stack: false
    .vgpr_count:     26
    .vgpr_spill_count: 0
    .wavefront_size: 64
  - .args:
      - .offset:         0
        .size:           4
        .value_kind:     by_value
      - .offset:         4
        .size:           4
        .value_kind:     by_value
      - .offset:         8
        .size:           4
        .value_kind:     by_value
      - .offset:         12
        .size:           4
        .value_kind:     by_value
      - .offset:         16
        .size:           8
        .value_kind:     by_value
      - .actual_access:  read_only
        .address_space:  global
        .offset:         24
        .size:           8
        .value_kind:     global_buffer
      - .actual_access:  read_only
        .address_space:  global
        .offset:         32
        .size:           8
        .value_kind:     global_buffer
      - .actual_access:  read_only
        .address_space:  global
        .offset:         40
        .size:           8
        .value_kind:     global_buffer
      - .offset:         48
        .size:           8
        .value_kind:     by_value
      - .actual_access:  read_only
        .address_space:  global
        .offset:         56
        .size:           8
        .value_kind:     global_buffer
      - .actual_access:  read_only
        .address_space:  global
        .offset:         64
        .size:           8
        .value_kind:     global_buffer
      - .actual_access:  read_only
        .address_space:  global
        .offset:         72
        .size:           8
        .value_kind:     global_buffer
      - .actual_access:  read_only
        .address_space:  global
        .offset:         80
        .size:           8
        .value_kind:     global_buffer
      - .actual_access:  write_only
        .address_space:  global
        .offset:         88
        .size:           8
        .value_kind:     global_buffer
      - .actual_access:  write_only
        .address_space:  global
        .offset:         96
        .size:           8
        .value_kind:     global_buffer
      - .offset:         104
        .size:           4
        .value_kind:     by_value
      - .offset:         108
        .size:           4
        .value_kind:     by_value
      - .offset:         112
        .size:           4
        .value_kind:     by_value
      - .offset:         116
        .size:           1
        .value_kind:     by_value
    .group_segment_fixed_size: 2052
    .kernarg_segment_align: 8
    .kernarg_segment_size: 120
    .language:       OpenCL C
    .language_version:
      - 2
      - 0
    .max_flat_workgroup_size: 256
    .name:           _ZN9rocsparseL39bsrgeam_block_per_row_multipass_kernel2ILj256ELj16E21rocsparse_complex_numIfEEEv20rocsparse_direction_iiiNS_24const_host_device_scalarIT1_EEPKiS8_PKS5_S6_S8_S8_SA_S8_PiPS5_21rocsparse_index_base_SD_SD_b
    .private_segment_fixed_size: 0
    .sgpr_count:     48
    .sgpr_spill_count: 0
    .symbol:         _ZN9rocsparseL39bsrgeam_block_per_row_multipass_kernel2ILj256ELj16E21rocsparse_complex_numIfEEEv20rocsparse_direction_iiiNS_24const_host_device_scalarIT1_EEPKiS8_PKS5_S6_S8_S8_SA_S8_PiPS5_21rocsparse_index_base_SD_SD_b.kd
    .uniform_work_group_size: 1
    .uses_dynamic_stack: false
    .vgpr_count:     16
    .vgpr_spill_count: 0
    .wavefront_size: 64
  - .args:
      - .offset:         0
        .size:           4
        .value_kind:     by_value
      - .offset:         4
        .size:           4
        .value_kind:     by_value
      - .offset:         8
        .size:           4
        .value_kind:     by_value
      - .offset:         12
        .size:           4
        .value_kind:     by_value
      - .offset:         16
        .size:           8
        .value_kind:     by_value
      - .actual_access:  read_only
        .address_space:  global
        .offset:         24
        .size:           8
        .value_kind:     global_buffer
      - .actual_access:  read_only
        .address_space:  global
        .offset:         32
        .size:           8
        .value_kind:     global_buffer
      - .actual_access:  read_only
        .address_space:  global
        .offset:         40
        .size:           8
        .value_kind:     global_buffer
      - .offset:         48
        .size:           8
        .value_kind:     by_value
      - .actual_access:  read_only
        .address_space:  global
        .offset:         56
        .size:           8
        .value_kind:     global_buffer
      - .actual_access:  read_only
        .address_space:  global
        .offset:         64
        .size:           8
        .value_kind:     global_buffer
      - .actual_access:  read_only
        .address_space:  global
        .offset:         72
        .size:           8
        .value_kind:     global_buffer
      - .actual_access:  read_only
        .address_space:  global
        .offset:         80
        .size:           8
        .value_kind:     global_buffer
      - .actual_access:  write_only
        .address_space:  global
        .offset:         88
        .size:           8
        .value_kind:     global_buffer
      - .actual_access:  write_only
        .address_space:  global
        .offset:         96
        .size:           8
        .value_kind:     global_buffer
      - .offset:         104
        .size:           4
        .value_kind:     by_value
      - .offset:         108
        .size:           4
        .value_kind:     by_value
      - .offset:         112
        .size:           4
        .value_kind:     by_value
      - .offset:         116
        .size:           1
        .value_kind:     by_value
    .group_segment_fixed_size: 8196
    .kernarg_segment_align: 8
    .kernarg_segment_size: 120
    .language:       OpenCL C
    .language_version:
      - 2
      - 0
    .max_flat_workgroup_size: 256
    .name:           _ZN9rocsparseL39bsrgeam_block_per_row_multipass_kernel2ILj256ELj32E21rocsparse_complex_numIfEEEv20rocsparse_direction_iiiNS_24const_host_device_scalarIT1_EEPKiS8_PKS5_S6_S8_S8_SA_S8_PiPS5_21rocsparse_index_base_SD_SD_b
    .private_segment_fixed_size: 0
    .sgpr_count:     56
    .sgpr_spill_count: 0
    .symbol:         _ZN9rocsparseL39bsrgeam_block_per_row_multipass_kernel2ILj256ELj32E21rocsparse_complex_numIfEEEv20rocsparse_direction_iiiNS_24const_host_device_scalarIT1_EEPKiS8_PKS5_S6_S8_S8_SA_S8_PiPS5_21rocsparse_index_base_SD_SD_b.kd
    .uniform_work_group_size: 1
    .uses_dynamic_stack: false
    .vgpr_count:     25
    .vgpr_spill_count: 0
    .wavefront_size: 64
  - .args:
      - .offset:         0
        .size:           4
        .value_kind:     by_value
      - .offset:         4
        .size:           4
        .value_kind:     by_value
      - .offset:         8
        .size:           4
        .value_kind:     by_value
      - .offset:         12
        .size:           4
        .value_kind:     by_value
      - .offset:         16
        .size:           16
        .value_kind:     by_value
      - .actual_access:  read_only
        .address_space:  global
        .offset:         32
        .size:           8
        .value_kind:     global_buffer
      - .actual_access:  read_only
        .address_space:  global
        .offset:         40
        .size:           8
        .value_kind:     global_buffer
      - .actual_access:  read_only
        .address_space:  global
        .offset:         48
        .size:           8
        .value_kind:     global_buffer
      - .offset:         56
        .size:           16
        .value_kind:     by_value
      - .actual_access:  read_only
        .address_space:  global
        .offset:         72
        .size:           8
        .value_kind:     global_buffer
      - .actual_access:  read_only
        .address_space:  global
        .offset:         80
        .size:           8
        .value_kind:     global_buffer
      - .actual_access:  read_only
        .address_space:  global
        .offset:         88
        .size:           8
        .value_kind:     global_buffer
      - .actual_access:  read_only
        .address_space:  global
        .offset:         96
        .size:           8
        .value_kind:     global_buffer
      - .actual_access:  write_only
        .address_space:  global
        .offset:         104
        .size:           8
        .value_kind:     global_buffer
      - .actual_access:  write_only
        .address_space:  global
        .offset:         112
        .size:           8
        .value_kind:     global_buffer
      - .offset:         120
        .size:           4
        .value_kind:     by_value
      - .offset:         124
        .size:           4
        .value_kind:     by_value
      - .offset:         128
        .size:           4
        .value_kind:     by_value
      - .offset:         132
        .size:           1
        .value_kind:     by_value
    .group_segment_fixed_size: 16640
    .kernarg_segment_align: 8
    .kernarg_segment_size: 136
    .language:       OpenCL C
    .language_version:
      - 2
      - 0
    .max_flat_workgroup_size: 256
    .name:           _ZN9rocsparseL39bsrgeam_wf_per_row_multipass_2_3_kernelILj256ELj2ELj32E21rocsparse_complex_numIdEEEv20rocsparse_direction_iiiNS_24const_host_device_scalarIT2_EEPKiS8_PKS5_S6_S8_S8_SA_S8_PiPS5_21rocsparse_index_base_SD_SD_b
    .private_segment_fixed_size: 16
    .sgpr_count:     42
    .sgpr_spill_count: 0
    .symbol:         _ZN9rocsparseL39bsrgeam_wf_per_row_multipass_2_3_kernelILj256ELj2ELj32E21rocsparse_complex_numIdEEEv20rocsparse_direction_iiiNS_24const_host_device_scalarIT2_EEPKiS8_PKS5_S6_S8_S8_SA_S8_PiPS5_21rocsparse_index_base_SD_SD_b.kd
    .uniform_work_group_size: 1
    .uses_dynamic_stack: false
    .vgpr_count:     68
    .vgpr_spill_count: 0
    .wavefront_size: 64
  - .args:
      - .offset:         0
        .size:           4
        .value_kind:     by_value
      - .offset:         4
        .size:           4
        .value_kind:     by_value
      - .offset:         8
        .size:           4
        .value_kind:     by_value
      - .offset:         12
        .size:           4
        .value_kind:     by_value
      - .offset:         16
        .size:           16
        .value_kind:     by_value
      - .actual_access:  read_only
        .address_space:  global
        .offset:         32
        .size:           8
        .value_kind:     global_buffer
      - .actual_access:  read_only
        .address_space:  global
        .offset:         40
        .size:           8
        .value_kind:     global_buffer
      - .actual_access:  read_only
        .address_space:  global
        .offset:         48
        .size:           8
        .value_kind:     global_buffer
      - .offset:         56
        .size:           16
        .value_kind:     by_value
      - .actual_access:  read_only
        .address_space:  global
        .offset:         72
        .size:           8
        .value_kind:     global_buffer
      - .actual_access:  read_only
        .address_space:  global
        .offset:         80
        .size:           8
        .value_kind:     global_buffer
      - .actual_access:  read_only
        .address_space:  global
        .offset:         88
        .size:           8
        .value_kind:     global_buffer
      - .actual_access:  read_only
        .address_space:  global
        .offset:         96
        .size:           8
        .value_kind:     global_buffer
      - .actual_access:  write_only
        .address_space:  global
        .offset:         104
        .size:           8
        .value_kind:     global_buffer
      - .actual_access:  write_only
        .address_space:  global
        .offset:         112
        .size:           8
        .value_kind:     global_buffer
      - .offset:         120
        .size:           4
        .value_kind:     by_value
      - .offset:         124
        .size:           4
        .value_kind:     by_value
      - .offset:         128
        .size:           4
        .value_kind:     by_value
      - .offset:         132
        .size:           1
        .value_kind:     by_value
    .group_segment_fixed_size: 16640
    .kernarg_segment_align: 8
    .kernarg_segment_size: 136
    .language:       OpenCL C
    .language_version:
      - 2
      - 0
    .max_flat_workgroup_size: 256
    .name:           _ZN9rocsparseL39bsrgeam_wf_per_row_multipass_2_3_kernelILj256ELj2ELj64E21rocsparse_complex_numIdEEEv20rocsparse_direction_iiiNS_24const_host_device_scalarIT2_EEPKiS8_PKS5_S6_S8_S8_SA_S8_PiPS5_21rocsparse_index_base_SD_SD_b
    .private_segment_fixed_size: 16
    .sgpr_count:     42
    .sgpr_spill_count: 0
    .symbol:         _ZN9rocsparseL39bsrgeam_wf_per_row_multipass_2_3_kernelILj256ELj2ELj64E21rocsparse_complex_numIdEEEv20rocsparse_direction_iiiNS_24const_host_device_scalarIT2_EEPKiS8_PKS5_S6_S8_S8_SA_S8_PiPS5_21rocsparse_index_base_SD_SD_b.kd
    .uniform_work_group_size: 1
    .uses_dynamic_stack: false
    .vgpr_count:     70
    .vgpr_spill_count: 0
    .wavefront_size: 64
  - .args:
      - .offset:         0
        .size:           4
        .value_kind:     by_value
      - .offset:         4
        .size:           4
        .value_kind:     by_value
      - .offset:         8
        .size:           4
        .value_kind:     by_value
      - .offset:         12
        .size:           4
        .value_kind:     by_value
      - .offset:         16
        .size:           16
        .value_kind:     by_value
      - .actual_access:  read_only
        .address_space:  global
        .offset:         32
        .size:           8
        .value_kind:     global_buffer
      - .actual_access:  read_only
        .address_space:  global
        .offset:         40
        .size:           8
        .value_kind:     global_buffer
      - .actual_access:  read_only
        .address_space:  global
        .offset:         48
        .size:           8
        .value_kind:     global_buffer
      - .offset:         56
        .size:           16
        .value_kind:     by_value
      - .actual_access:  read_only
        .address_space:  global
        .offset:         72
        .size:           8
        .value_kind:     global_buffer
      - .actual_access:  read_only
        .address_space:  global
        .offset:         80
        .size:           8
        .value_kind:     global_buffer
      - .actual_access:  read_only
        .address_space:  global
        .offset:         88
        .size:           8
        .value_kind:     global_buffer
      - .actual_access:  read_only
        .address_space:  global
        .offset:         96
        .size:           8
        .value_kind:     global_buffer
      - .actual_access:  write_only
        .address_space:  global
        .offset:         104
        .size:           8
        .value_kind:     global_buffer
      - .actual_access:  write_only
        .address_space:  global
        .offset:         112
        .size:           8
        .value_kind:     global_buffer
      - .offset:         120
        .size:           4
        .value_kind:     by_value
      - .offset:         124
        .size:           4
        .value_kind:     by_value
      - .offset:         128
        .size:           4
        .value_kind:     by_value
      - .offset:         132
        .size:           1
        .value_kind:     by_value
    .group_segment_fixed_size: 37120
    .kernarg_segment_align: 8
    .kernarg_segment_size: 136
    .language:       OpenCL C
    .language_version:
      - 2
      - 0
    .max_flat_workgroup_size: 256
    .name:           _ZN9rocsparseL39bsrgeam_wf_per_row_multipass_2_3_kernelILj256ELj3ELj32E21rocsparse_complex_numIdEEEv20rocsparse_direction_iiiNS_24const_host_device_scalarIT2_EEPKiS8_PKS5_S6_S8_S8_SA_S8_PiPS5_21rocsparse_index_base_SD_SD_b
    .private_segment_fixed_size: 16
    .sgpr_count:     42
    .sgpr_spill_count: 0
    .symbol:         _ZN9rocsparseL39bsrgeam_wf_per_row_multipass_2_3_kernelILj256ELj3ELj32E21rocsparse_complex_numIdEEEv20rocsparse_direction_iiiNS_24const_host_device_scalarIT2_EEPKiS8_PKS5_S6_S8_S8_SA_S8_PiPS5_21rocsparse_index_base_SD_SD_b.kd
    .uniform_work_group_size: 1
    .uses_dynamic_stack: false
    .vgpr_count:     124
    .vgpr_spill_count: 0
    .wavefront_size: 64
  - .args:
      - .offset:         0
        .size:           4
        .value_kind:     by_value
      - .offset:         4
        .size:           4
        .value_kind:     by_value
      - .offset:         8
        .size:           4
        .value_kind:     by_value
      - .offset:         12
        .size:           4
        .value_kind:     by_value
      - .offset:         16
        .size:           16
        .value_kind:     by_value
      - .actual_access:  read_only
        .address_space:  global
        .offset:         32
        .size:           8
        .value_kind:     global_buffer
      - .actual_access:  read_only
        .address_space:  global
        .offset:         40
        .size:           8
        .value_kind:     global_buffer
      - .actual_access:  read_only
        .address_space:  global
        .offset:         48
        .size:           8
        .value_kind:     global_buffer
      - .offset:         56
        .size:           16
        .value_kind:     by_value
      - .actual_access:  read_only
        .address_space:  global
        .offset:         72
        .size:           8
        .value_kind:     global_buffer
      - .actual_access:  read_only
        .address_space:  global
        .offset:         80
        .size:           8
        .value_kind:     global_buffer
      - .actual_access:  read_only
        .address_space:  global
        .offset:         88
        .size:           8
        .value_kind:     global_buffer
      - .actual_access:  read_only
        .address_space:  global
        .offset:         96
        .size:           8
        .value_kind:     global_buffer
      - .actual_access:  write_only
        .address_space:  global
        .offset:         104
        .size:           8
        .value_kind:     global_buffer
      - .actual_access:  write_only
        .address_space:  global
        .offset:         112
        .size:           8
        .value_kind:     global_buffer
      - .offset:         120
        .size:           4
        .value_kind:     by_value
      - .offset:         124
        .size:           4
        .value_kind:     by_value
      - .offset:         128
        .size:           4
        .value_kind:     by_value
      - .offset:         132
        .size:           1
        .value_kind:     by_value
    .group_segment_fixed_size: 37120
    .kernarg_segment_align: 8
    .kernarg_segment_size: 136
    .language:       OpenCL C
    .language_version:
      - 2
      - 0
    .max_flat_workgroup_size: 256
    .name:           _ZN9rocsparseL39bsrgeam_wf_per_row_multipass_2_3_kernelILj256ELj3ELj64E21rocsparse_complex_numIdEEEv20rocsparse_direction_iiiNS_24const_host_device_scalarIT2_EEPKiS8_PKS5_S6_S8_S8_SA_S8_PiPS5_21rocsparse_index_base_SD_SD_b
    .private_segment_fixed_size: 16
    .sgpr_count:     42
    .sgpr_spill_count: 0
    .symbol:         _ZN9rocsparseL39bsrgeam_wf_per_row_multipass_2_3_kernelILj256ELj3ELj64E21rocsparse_complex_numIdEEEv20rocsparse_direction_iiiNS_24const_host_device_scalarIT2_EEPKiS8_PKS5_S6_S8_S8_SA_S8_PiPS5_21rocsparse_index_base_SD_SD_b.kd
    .uniform_work_group_size: 1
    .uses_dynamic_stack: false
    .vgpr_count:     127
    .vgpr_spill_count: 0
    .wavefront_size: 64
  - .args:
      - .offset:         0
        .size:           4
        .value_kind:     by_value
      - .offset:         4
        .size:           4
        .value_kind:     by_value
      - .offset:         8
        .size:           4
        .value_kind:     by_value
      - .offset:         12
        .size:           4
        .value_kind:     by_value
      - .offset:         16
        .size:           16
        .value_kind:     by_value
      - .actual_access:  read_only
        .address_space:  global
        .offset:         32
        .size:           8
        .value_kind:     global_buffer
      - .actual_access:  read_only
        .address_space:  global
        .offset:         40
        .size:           8
        .value_kind:     global_buffer
      - .actual_access:  read_only
        .address_space:  global
        .offset:         48
        .size:           8
        .value_kind:     global_buffer
      - .offset:         56
        .size:           16
        .value_kind:     by_value
      - .actual_access:  read_only
        .address_space:  global
        .offset:         72
        .size:           8
        .value_kind:     global_buffer
      - .actual_access:  read_only
        .address_space:  global
        .offset:         80
        .size:           8
        .value_kind:     global_buffer
      - .actual_access:  read_only
        .address_space:  global
        .offset:         88
        .size:           8
        .value_kind:     global_buffer
      - .actual_access:  read_only
        .address_space:  global
        .offset:         96
        .size:           8
        .value_kind:     global_buffer
      - .actual_access:  write_only
        .address_space:  global
        .offset:         104
        .size:           8
        .value_kind:     global_buffer
      - .actual_access:  write_only
        .address_space:  global
        .offset:         112
        .size:           8
        .value_kind:     global_buffer
      - .offset:         120
        .size:           4
        .value_kind:     by_value
      - .offset:         124
        .size:           4
        .value_kind:     by_value
      - .offset:         128
        .size:           4
        .value_kind:     by_value
      - .offset:         132
        .size:           1
        .value_kind:     by_value
    .group_segment_fixed_size: 1056
    .kernarg_segment_align: 8
    .kernarg_segment_size: 136
    .language:       OpenCL C
    .language_version:
      - 2
      - 0
    .max_flat_workgroup_size: 64
    .name:           _ZN9rocsparseL35bsrgeam_wf_per_row_multipass_kernelILj64ELj4E21rocsparse_complex_numIdEEEv20rocsparse_direction_iiiNS_24const_host_device_scalarIT1_EEPKiS8_PKS5_S6_S8_S8_SA_S8_PiPS5_21rocsparse_index_base_SD_SD_b
    .private_segment_fixed_size: 16
    .sgpr_count:     50
    .sgpr_spill_count: 0
    .symbol:         _ZN9rocsparseL35bsrgeam_wf_per_row_multipass_kernelILj64ELj4E21rocsparse_complex_numIdEEEv20rocsparse_direction_iiiNS_24const_host_device_scalarIT1_EEPKiS8_PKS5_S6_S8_S8_SA_S8_PiPS5_21rocsparse_index_base_SD_SD_b.kd
    .uniform_work_group_size: 1
    .uses_dynamic_stack: false
    .vgpr_count:     42
    .vgpr_spill_count: 0
    .wavefront_size: 64
  - .args:
      - .offset:         0
        .size:           4
        .value_kind:     by_value
      - .offset:         4
        .size:           4
        .value_kind:     by_value
      - .offset:         8
        .size:           4
        .value_kind:     by_value
      - .offset:         12
        .size:           4
        .value_kind:     by_value
      - .offset:         16
        .size:           16
        .value_kind:     by_value
      - .actual_access:  read_only
        .address_space:  global
        .offset:         32
        .size:           8
        .value_kind:     global_buffer
      - .actual_access:  read_only
        .address_space:  global
        .offset:         40
        .size:           8
        .value_kind:     global_buffer
      - .actual_access:  read_only
        .address_space:  global
        .offset:         48
        .size:           8
        .value_kind:     global_buffer
      - .offset:         56
        .size:           16
        .value_kind:     by_value
      - .actual_access:  read_only
        .address_space:  global
        .offset:         72
        .size:           8
        .value_kind:     global_buffer
      - .actual_access:  read_only
        .address_space:  global
        .offset:         80
        .size:           8
        .value_kind:     global_buffer
      - .actual_access:  read_only
        .address_space:  global
        .offset:         88
        .size:           8
        .value_kind:     global_buffer
      - .actual_access:  read_only
        .address_space:  global
        .offset:         96
        .size:           8
        .value_kind:     global_buffer
      - .actual_access:  write_only
        .address_space:  global
        .offset:         104
        .size:           8
        .value_kind:     global_buffer
      - .actual_access:  write_only
        .address_space:  global
        .offset:         112
        .size:           8
        .value_kind:     global_buffer
      - .offset:         120
        .size:           4
        .value_kind:     by_value
      - .offset:         124
        .size:           4
        .value_kind:     by_value
      - .offset:         128
        .size:           4
        .value_kind:     by_value
      - .offset:         132
        .size:           1
        .value_kind:     by_value
    .group_segment_fixed_size: 1032
    .kernarg_segment_align: 8
    .kernarg_segment_size: 136
    .language:       OpenCL C
    .language_version:
      - 2
      - 0
    .max_flat_workgroup_size: 64
    .name:           _ZN9rocsparseL35bsrgeam_wf_per_row_multipass_kernelILj64ELj8E21rocsparse_complex_numIdEEEv20rocsparse_direction_iiiNS_24const_host_device_scalarIT1_EEPKiS8_PKS5_S6_S8_S8_SA_S8_PiPS5_21rocsparse_index_base_SD_SD_b
    .private_segment_fixed_size: 16
    .sgpr_count:     46
    .sgpr_spill_count: 0
    .symbol:         _ZN9rocsparseL35bsrgeam_wf_per_row_multipass_kernelILj64ELj8E21rocsparse_complex_numIdEEEv20rocsparse_direction_iiiNS_24const_host_device_scalarIT1_EEPKiS8_PKS5_S6_S8_S8_SA_S8_PiPS5_21rocsparse_index_base_SD_SD_b.kd
    .uniform_work_group_size: 1
    .uses_dynamic_stack: false
    .vgpr_count:     41
    .vgpr_spill_count: 0
    .wavefront_size: 64
  - .args:
      - .offset:         0
        .size:           4
        .value_kind:     by_value
      - .offset:         4
        .size:           4
        .value_kind:     by_value
      - .offset:         8
        .size:           4
        .value_kind:     by_value
      - .offset:         12
        .size:           4
        .value_kind:     by_value
      - .offset:         16
        .size:           16
        .value_kind:     by_value
      - .actual_access:  read_only
        .address_space:  global
        .offset:         32
        .size:           8
        .value_kind:     global_buffer
      - .actual_access:  read_only
        .address_space:  global
        .offset:         40
        .size:           8
        .value_kind:     global_buffer
      - .actual_access:  read_only
        .address_space:  global
        .offset:         48
        .size:           8
        .value_kind:     global_buffer
      - .offset:         56
        .size:           16
        .value_kind:     by_value
      - .actual_access:  read_only
        .address_space:  global
        .offset:         72
        .size:           8
        .value_kind:     global_buffer
      - .actual_access:  read_only
        .address_space:  global
        .offset:         80
        .size:           8
        .value_kind:     global_buffer
      - .actual_access:  read_only
        .address_space:  global
        .offset:         88
        .size:           8
        .value_kind:     global_buffer
      - .actual_access:  read_only
        .address_space:  global
        .offset:         96
        .size:           8
        .value_kind:     global_buffer
      - .actual_access:  write_only
        .address_space:  global
        .offset:         104
        .size:           8
        .value_kind:     global_buffer
      - .actual_access:  write_only
        .address_space:  global
        .offset:         112
        .size:           8
        .value_kind:     global_buffer
      - .offset:         120
        .size:           4
        .value_kind:     by_value
      - .offset:         124
        .size:           4
        .value_kind:     by_value
      - .offset:         128
        .size:           4
        .value_kind:     by_value
      - .offset:         132
        .size:           1
        .value_kind:     by_value
    .group_segment_fixed_size: 4104
    .kernarg_segment_align: 8
    .kernarg_segment_size: 136
    .language:       OpenCL C
    .language_version:
      - 2
      - 0
    .max_flat_workgroup_size: 256
    .name:           _ZN9rocsparseL39bsrgeam_block_per_row_multipass_kernel2ILj256ELj16E21rocsparse_complex_numIdEEEv20rocsparse_direction_iiiNS_24const_host_device_scalarIT1_EEPKiS8_PKS5_S6_S8_S8_SA_S8_PiPS5_21rocsparse_index_base_SD_SD_b
    .private_segment_fixed_size: 16
    .sgpr_count:     50
    .sgpr_spill_count: 0
    .symbol:         _ZN9rocsparseL39bsrgeam_block_per_row_multipass_kernel2ILj256ELj16E21rocsparse_complex_numIdEEEv20rocsparse_direction_iiiNS_24const_host_device_scalarIT1_EEPKiS8_PKS5_S6_S8_S8_SA_S8_PiPS5_21rocsparse_index_base_SD_SD_b.kd
    .uniform_work_group_size: 1
    .uses_dynamic_stack: false
    .vgpr_count:     30
    .vgpr_spill_count: 0
    .wavefront_size: 64
  - .args:
      - .offset:         0
        .size:           4
        .value_kind:     by_value
      - .offset:         4
        .size:           4
        .value_kind:     by_value
      - .offset:         8
        .size:           4
        .value_kind:     by_value
      - .offset:         12
        .size:           4
        .value_kind:     by_value
      - .offset:         16
        .size:           16
        .value_kind:     by_value
      - .actual_access:  read_only
        .address_space:  global
        .offset:         32
        .size:           8
        .value_kind:     global_buffer
      - .actual_access:  read_only
        .address_space:  global
        .offset:         40
        .size:           8
        .value_kind:     global_buffer
      - .actual_access:  read_only
        .address_space:  global
        .offset:         48
        .size:           8
        .value_kind:     global_buffer
      - .offset:         56
        .size:           16
        .value_kind:     by_value
      - .actual_access:  read_only
        .address_space:  global
        .offset:         72
        .size:           8
        .value_kind:     global_buffer
      - .actual_access:  read_only
        .address_space:  global
        .offset:         80
        .size:           8
        .value_kind:     global_buffer
      - .actual_access:  read_only
        .address_space:  global
        .offset:         88
        .size:           8
        .value_kind:     global_buffer
      - .actual_access:  read_only
        .address_space:  global
        .offset:         96
        .size:           8
        .value_kind:     global_buffer
      - .actual_access:  write_only
        .address_space:  global
        .offset:         104
        .size:           8
        .value_kind:     global_buffer
      - .actual_access:  write_only
        .address_space:  global
        .offset:         112
        .size:           8
        .value_kind:     global_buffer
      - .offset:         120
        .size:           4
        .value_kind:     by_value
      - .offset:         124
        .size:           4
        .value_kind:     by_value
      - .offset:         128
        .size:           4
        .value_kind:     by_value
      - .offset:         132
        .size:           1
        .value_kind:     by_value
    .group_segment_fixed_size: 16392
    .kernarg_segment_align: 8
    .kernarg_segment_size: 136
    .language:       OpenCL C
    .language_version:
      - 2
      - 0
    .max_flat_workgroup_size: 256
    .name:           _ZN9rocsparseL39bsrgeam_block_per_row_multipass_kernel2ILj256ELj32E21rocsparse_complex_numIdEEEv20rocsparse_direction_iiiNS_24const_host_device_scalarIT1_EEPKiS8_PKS5_S6_S8_S8_SA_S8_PiPS5_21rocsparse_index_base_SD_SD_b
    .private_segment_fixed_size: 16
    .sgpr_count:     58
    .sgpr_spill_count: 0
    .symbol:         _ZN9rocsparseL39bsrgeam_block_per_row_multipass_kernel2ILj256ELj32E21rocsparse_complex_numIdEEEv20rocsparse_direction_iiiNS_24const_host_device_scalarIT1_EEPKiS8_PKS5_S6_S8_S8_SA_S8_PiPS5_21rocsparse_index_base_SD_SD_b.kd
    .uniform_work_group_size: 1
    .uses_dynamic_stack: false
    .vgpr_count:     42
    .vgpr_spill_count: 0
    .wavefront_size: 64
amdhsa.target:   amdgcn-amd-amdhsa--gfx906
amdhsa.version:
  - 1
  - 2
...

	.end_amdgpu_metadata
